;; amdgpu-corpus repo=zjin-lcf/HeCBench kind=compiled arch=gfx1201 opt=O3
	.amdgcn_target "amdgcn-amd-amdhsa--gfx1201"
	.amdhsa_code_object_version 6
	.section	.text._Z6kalmanILi8EEvPKdiS1_S1_S1_S1_S1_bS1_iPdS2_S2_iiS2_bS2_,"axG",@progbits,_Z6kalmanILi8EEvPKdiS1_S1_S1_S1_S1_bS1_iPdS2_S2_iiS2_bS2_,comdat
	.protected	_Z6kalmanILi8EEvPKdiS1_S1_S1_S1_S1_bS1_iPdS2_S2_iiS2_bS2_ ; -- Begin function _Z6kalmanILi8EEvPKdiS1_S1_S1_S1_S1_bS1_iPdS2_S2_iiS2_bS2_
	.globl	_Z6kalmanILi8EEvPKdiS1_S1_S1_S1_S1_bS1_iPdS2_S2_iiS2_bS2_
	.p2align	8
	.type	_Z6kalmanILi8EEvPKdiS1_S1_S1_S1_S1_bS1_iPdS2_S2_iiS2_bS2_,@function
_Z6kalmanILi8EEvPKdiS1_S1_S1_S1_S1_bS1_iPdS2_S2_iiS2_bS2_: ; @_Z6kalmanILi8EEvPKdiS1_S1_S1_S1_S1_bS1_iPdS2_S2_iiS2_bS2_
; %bb.0:
	s_clause 0x1
	s_load_b32 s2, s[0:1], 0x94
	s_load_b32 s3, s[0:1], 0x48
	s_wait_kmcnt 0x0
	s_and_b32 s2, s2, 0xffff
	s_delay_alu instid0(SALU_CYCLE_1)
	v_mad_co_u64_u32 v[10:11], null, ttmp9, s2, v[0:1]
	s_mov_b32 s2, exec_lo
	v_cmpx_gt_i32_e64 s3, v10
	s_cbranch_execz .LBB0_48
; %bb.1:
	s_load_b256 s[4:11], s[0:1], 0x10
	v_dual_mov_b32 v31, v10 :: v_dual_lshlrev_b32 v0, 6, v10
	s_clause 0x1
	s_load_b64 s[12:13], s[0:1], 0x30
	s_load_b64 s[2:3], s[0:1], 0x68
	s_delay_alu instid0(VALU_DEP_1) | instskip(NEXT) | instid1(VALU_DEP_1)
	v_ashrrev_i32_e32 v1, 31, v0
	v_lshlrev_b64_e32 v[0:1], 3, v[0:1]
	s_wait_kmcnt 0x0
	s_delay_alu instid0(VALU_DEP_1) | instskip(NEXT) | instid1(VALU_DEP_1)
	v_add_co_u32 v2, vcc_lo, s8, v0
	v_add_co_ci_u32_e64 v3, null, s9, v1, vcc_lo
	v_add_co_u32 v4, vcc_lo, s4, v0
	s_wait_alu 0xfffd
	v_add_co_ci_u32_e64 v5, null, s5, v1, vcc_lo
	s_clause 0x1
	global_load_b128 v[16:19], v[2:3], off offset:368
	global_load_b128 v[6:9], v[2:3], off offset:48
	v_add_co_u32 v0, vcc_lo, s10, v0
	s_wait_alu 0xfffd
	v_add_co_ci_u32_e64 v1, null, s11, v1, vcc_lo
	s_cmp_gt_i32 s2, 0
	global_load_b128 v[12:15], v[2:3], off offset:224
	s_cselect_b32 s4, -1, 0
	s_cmp_lt_i32 s2, 1
	s_wait_loadcnt 0x2
	scratch_store_b128 off, v[16:19], off offset:2040 ; 16-byte Folded Spill
	global_load_b128 v[16:19], v[2:3], off offset:352
	s_wait_loadcnt 0x1
	scratch_store_b128 off, v[12:15], off offset:1928 ; 16-byte Folded Spill
	global_load_b128 v[12:15], v[2:3], off offset:208
	s_wait_loadcnt 0x1
	scratch_store_b128 off, v[16:19], off offset:2056 ; 16-byte Folded Spill
	global_load_b128 v[16:19], v[2:3], off offset:336
	s_wait_loadcnt 0x1
	scratch_store_b128 off, v[12:15], off offset:1944 ; 16-byte Folded Spill
	global_load_b128 v[12:15], v[2:3], off offset:192
	s_wait_loadcnt 0x1
	scratch_store_b128 off, v[16:19], off offset:2072 ; 16-byte Folded Spill
	global_load_b128 v[16:19], v[2:3], off offset:320
	scratch_store_b128 off, v[6:9], off offset:1720 ; 16-byte Folded Spill
	global_load_b128 v[6:9], v[2:3], off offset:32
	s_wait_loadcnt 0x2
	scratch_store_b128 off, v[12:15], off offset:1960 ; 16-byte Folded Spill
	global_load_b128 v[12:15], v[2:3], off offset:304
	s_wait_loadcnt 0x2
	;; [unrolled: 3-line block ×6, first 2 shown]
	scratch_store_b128 off, v[6:9], off offset:1752 ; 16-byte Folded Spill
	global_load_b128 v[6:9], v[2:3], off
	s_wait_loadcnt 0x2
	scratch_store_b128 off, v[12:15], off offset:1992 ; 16-byte Folded Spill
	global_load_b128 v[12:15], v[2:3], off offset:272
	s_wait_loadcnt 0x2
	scratch_store_b128 off, v[16:19], off offset:2120 ; 16-byte Folded Spill
	global_load_b128 v[16:19], v[2:3], off offset:400
	s_wait_loadcnt 0x2
	scratch_store_b128 off, v[6:9], off offset:1768 ; 16-byte Folded Spill
	global_load_b128 v[6:9], v[2:3], off offset:112
	s_wait_loadcnt 0x2
	scratch_store_b128 off, v[12:15], off offset:2008 ; 16-byte Folded Spill
	global_load_b128 v[12:15], v[2:3], off offset:256
	s_wait_loadcnt 0x2
	scratch_store_b128 off, v[16:19], off offset:2136 ; 16-byte Folded Spill
	global_load_b128 v[16:19], v[2:3], off offset:384
	s_wait_loadcnt 0x2
	scratch_store_b128 off, v[6:9], off offset:1784 ; 16-byte Folded Spill
	global_load_b128 v[6:9], v[2:3], off offset:96
	s_wait_loadcnt 0x1
	scratch_store_b128 off, v[16:19], off offset:2152 ; 16-byte Folded Spill
	global_load_b128 v[16:19], v[2:3], off offset:496
	s_wait_loadcnt 0x1
	scratch_store_b128 off, v[6:9], off offset:1800 ; 16-byte Folded Spill
	global_load_b128 v[6:9], v[2:3], off offset:80
	s_wait_loadcnt 0x1
	scratch_store_b128 off, v[16:19], off offset:2168 ; 16-byte Folded Spill
	global_load_b128 v[16:19], v[2:3], off offset:480
	s_wait_loadcnt 0x1
	scratch_store_b128 off, v[6:9], off offset:1816 ; 16-byte Folded Spill
	global_load_b128 v[6:9], v[2:3], off offset:64
	s_wait_loadcnt 0x1
	scratch_store_b128 off, v[16:19], off offset:2184 ; 16-byte Folded Spill
	global_load_b128 v[16:19], v[2:3], off offset:464
	s_wait_loadcnt 0x1
	scratch_store_b128 off, v[6:9], off offset:1832 ; 16-byte Folded Spill
	global_load_b128 v[6:9], v[2:3], off offset:176
	s_wait_loadcnt 0x1
	scratch_store_b128 off, v[16:19], off offset:2200 ; 16-byte Folded Spill
	global_load_b128 v[16:19], v[2:3], off offset:448
	s_wait_loadcnt 0x1
	scratch_store_b128 off, v[6:9], off offset:1848 ; 16-byte Folded Spill
	global_load_b128 v[6:9], v[2:3], off offset:160
	s_wait_loadcnt 0x1
	scratch_store_b128 off, v[16:19], off offset:2216 ; 16-byte Folded Spill
	global_load_b128 v[16:19], v[4:5], off offset:48
	s_wait_loadcnt 0x1
	scratch_store_b128 off, v[6:9], off offset:1864 ; 16-byte Folded Spill
	global_load_b128 v[6:9], v[2:3], off offset:144
	s_wait_loadcnt 0x1
	scratch_store_b128 off, v[16:19], off offset:80 ; 16-byte Folded Spill
	global_load_b128 v[16:19], v[4:5], off offset:32
	s_wait_loadcnt 0x1
	scratch_store_b128 off, v[6:9], off offset:1880 ; 16-byte Folded Spill
	global_load_b128 v[6:9], v[2:3], off offset:128
	scratch_store_b128 off, v[12:15], off offset:2024 ; 16-byte Folded Spill
	s_wait_loadcnt 0x1
	scratch_store_b128 off, v[16:19], off offset:144 ; 16-byte Folded Spill
	s_wait_loadcnt 0x0
	scratch_store_b128 off, v[6:9], off offset:1896 ; 16-byte Folded Spill
	global_load_b128 v[6:9], v[2:3], off offset:240
	s_wait_loadcnt 0x0
	scratch_store_b128 off, v[6:9], off offset:1912 ; 16-byte Folded Spill
	v_lshlrev_b32_e32 v6, 3, v10
	s_delay_alu instid0(VALU_DEP_1) | instskip(NEXT) | instid1(VALU_DEP_1)
	v_ashrrev_i32_e32 v7, 31, v6
	v_lshlrev_b64_e32 v[14:15], 3, v[6:7]
	s_clause 0x1
	global_load_b128 v[126:129], v[4:5], off offset:16
	global_load_b128 v[6:9], v[4:5], off
	s_wait_loadcnt 0x0
	scratch_store_b128 off, v[6:9], off offset:160 ; 16-byte Folded Spill
	global_load_b128 v[6:9], v[4:5], off offset:112
	s_wait_loadcnt 0x0
	scratch_store_b128 off, v[6:9], off offset:384 ; 16-byte Folded Spill
	s_clause 0x2
	global_load_b128 v[122:125], v[4:5], off offset:96
	global_load_b128 v[118:121], v[4:5], off offset:80
	;; [unrolled: 1-line block ×3, first 2 shown]
	s_wait_loadcnt 0x0
	scratch_store_b128 off, v[6:9], off offset:64 ; 16-byte Folded Spill
	global_load_b128 v[6:9], v[4:5], off offset:176
	s_wait_loadcnt 0x0
	scratch_store_b128 off, v[6:9], off offset:256 ; 16-byte Folded Spill
	global_load_b128 v[6:9], v[4:5], off offset:160
	;; [unrolled: 3-line block ×6, first 2 shown]
	s_wait_loadcnt 0x0
	scratch_store_b128 off, v[6:9], off offset:288 ; 16-byte Folded Spill
	s_clause 0x1
	global_load_b128 v[10:13], v[4:5], off offset:208
	global_load_b128 v[6:9], v[4:5], off offset:192
	s_wait_loadcnt 0x0
	scratch_store_b128 off, v[6:9], off offset:304 ; 16-byte Folded Spill
	s_clause 0x5
	global_load_b128 v[146:149], v[4:5], off offset:304
	global_load_b128 v[23:26], v[4:5], off offset:288
	;; [unrolled: 1-line block ×6, first 2 shown]
	s_wait_loadcnt 0x0
	scratch_store_b128 off, v[6:9], off offset:432 ; 16-byte Folded Spill
	s_clause 0x1
	global_load_b128 v[188:191], v[4:5], off offset:336
	global_load_b128 v[6:9], v[4:5], off offset:320
	s_wait_loadcnt 0x0
	scratch_store_b128 off, v[6:9], off offset:352 ; 16-byte Folded Spill
	global_load_b128 v[6:9], v[4:5], off offset:432
	s_wait_loadcnt 0x0
	scratch_store_b128 off, v[6:9], off offset:680 ; 16-byte Folded Spill
	;; [unrolled: 3-line block ×3, first 2 shown]
	s_clause 0x1
	global_load_b128 v[96:99], v[4:5], off offset:400
	global_load_b128 v[6:9], v[4:5], off offset:384
	s_wait_loadcnt 0x0
	scratch_store_b128 off, v[6:9], off offset:464 ; 16-byte Folded Spill
	global_load_b128 v[6:9], v[4:5], off offset:496
	s_wait_loadcnt 0x0
	scratch_store_b128 off, v[6:9], off offset:712 ; 16-byte Folded Spill
	;; [unrolled: 3-line block ×3, first 2 shown]
	s_clause 0x1
	global_load_b128 v[6:9], v[4:5], off offset:464
	global_load_b128 v[2:5], v[4:5], off offset:448
	s_wait_loadcnt 0x1
	scratch_store_b128 off, v[6:9], off     ; 16-byte Folded Spill
	s_wait_loadcnt 0x0
	scratch_store_b128 off, v[2:5], off offset:480 ; 16-byte Folded Spill
	s_clause 0x18
	global_load_b128 v[44:47], v[0:1], off offset:48
	global_load_b128 v[60:63], v[0:1], off offset:32
	global_load_b128 v[76:79], v[0:1], off offset:16
	global_load_b128 v[92:95], v[0:1], off
	global_load_b128 v[36:39], v[0:1], off offset:112
	global_load_b128 v[56:59], v[0:1], off offset:96
	;; [unrolled: 1-line block ×21, first 2 shown]
	s_wait_loadcnt 0x0
	scratch_store_b128 off, v[104:107], off offset:368 ; 16-byte Folded Spill
	s_clause 0x4
	global_load_b128 v[104:107], v[0:1], off offset:416
	global_load_b128 v[134:137], v[0:1], off offset:400
	;; [unrolled: 1-line block ×5, first 2 shown]
	s_wait_loadcnt 0x0
	scratch_store_b128 off, v[112:115], off offset:176 ; 16-byte Folded Spill
	s_clause 0x1
	global_load_b128 v[112:115], v[0:1], off offset:464
	global_load_b128 v[138:141], v[0:1], off offset:448
	v_mov_b32_e32 v0, 0
	v_mov_b32_e32 v1, 0
	scratch_store_b64 off, v[0:1], off offset:552 ; 8-byte Folded Spill
	v_mov_b32_e32 v0, 0
	v_mov_b32_e32 v1, 0
	scratch_store_b64 off, v[0:1], off offset:560 ; 8-byte Folded Spill
	s_cbranch_scc1 .LBB0_3
; %bb.2:
	v_add_co_u32 v0, vcc_lo, s6, v14
	s_wait_alu 0xfffd
	v_add_co_ci_u32_e64 v1, null, s7, v15, vcc_lo
	global_load_b64 v[0:1], v[0:1], off
	s_wait_loadcnt 0x0
	scratch_store_b64 off, v[0:1], off offset:560 ; 8-byte Folded Spill
.LBB0_3:
	v_add_co_u32 v16, vcc_lo, s12, v14
	s_wait_alu 0xfffd
	v_add_co_ci_u32_e64 v17, null, s13, v15, vcc_lo
	s_wait_alu 0xfffe
	v_cndmask_b32_e64 v18, 0, 1, s4
	s_and_not1_b32 vcc_lo, exec_lo, s4
	scratch_store_b128 off, v[2:5], off offset:528 ; 16-byte Folded Spill
	global_load_b64 v[150:151], v[16:17], off
	s_wait_alu 0xfffe
	s_cbranch_vccnz .LBB0_5
; %bb.4:
	v_add_co_u32 v2, vcc_lo, s6, v14
	s_wait_alu 0xfffd
	v_add_co_ci_u32_e64 v3, null, s7, v15, vcc_lo
	global_load_b64 v[0:1], v[2:3], off offset:8
	s_wait_loadcnt 0x0
	scratch_store_b64 off, v[0:1], off offset:552 ; 8-byte Folded Spill
.LBB0_5:
	global_load_b64 v[152:153], v[16:17], off offset:8
	v_mov_b32_e32 v0, 0
	v_mov_b32_e32 v1, 0
	v_cmp_ne_u32_e32 vcc_lo, 1, v18
	scratch_store_b64 off, v[0:1], off offset:568 ; 8-byte Folded Spill
	v_mov_b32_e32 v0, 0
	v_mov_b32_e32 v1, 0
	scratch_store_b64 off, v[0:1], off offset:576 ; 8-byte Folded Spill
	s_cbranch_vccnz .LBB0_7
; %bb.6:
	v_add_co_u32 v4, vcc_lo, s6, v14
	s_wait_alu 0xfffd
	v_add_co_ci_u32_e64 v5, null, s7, v15, vcc_lo
	global_load_b64 v[0:1], v[4:5], off offset:16
	s_wait_loadcnt 0x0
	scratch_store_b64 off, v[0:1], off offset:576 ; 8-byte Folded Spill
.LBB0_7:
	global_load_b64 v[154:155], v[16:17], off offset:16
	v_cmp_ne_u32_e32 vcc_lo, 1, v18
	scratch_store_b128 off, v[6:9], off offset:496 ; 16-byte Folded Spill
	s_cbranch_vccnz .LBB0_9
; %bb.8:
	v_add_co_u32 v6, vcc_lo, s6, v14
	s_wait_alu 0xfffd
	v_add_co_ci_u32_e64 v7, null, s7, v15, vcc_lo
	global_load_b64 v[0:1], v[6:7], off offset:24
	s_wait_loadcnt 0x0
	scratch_store_b64 off, v[0:1], off offset:568 ; 8-byte Folded Spill
.LBB0_9:
	global_load_b64 v[156:157], v[16:17], off offset:24
	v_mov_b32_e32 v0, 0
	v_mov_b32_e32 v1, 0
	v_cmp_ne_u32_e32 vcc_lo, 1, v18
	scratch_store_b64 off, v[0:1], off offset:584 ; 8-byte Folded Spill
	v_mov_b32_e32 v0, 0
	v_mov_b32_e32 v1, 0
	scratch_store_b64 off, v[0:1], off offset:592 ; 8-byte Folded Spill
	s_cbranch_vccnz .LBB0_11
; %bb.10:
	v_add_co_u32 v8, vcc_lo, s6, v14
	s_wait_alu 0xfffd
	v_add_co_ci_u32_e64 v9, null, s7, v15, vcc_lo
	global_load_b64 v[0:1], v[8:9], off offset:32
	s_wait_loadcnt 0x0
	scratch_store_b64 off, v[0:1], off offset:592 ; 8-byte Folded Spill
.LBB0_11:
	global_load_b64 v[158:159], v[16:17], off offset:32
	v_cmp_ne_u32_e32 vcc_lo, 1, v18
	s_clause 0x2
	scratch_store_b128 off, v[100:103], off offset:512
	scratch_store_b128 off, v[126:129], off offset:128
	;; [unrolled: 1-line block ×3, first 2 shown]
	s_cbranch_vccnz .LBB0_13
; %bb.12:
	v_add_co_u32 v10, vcc_lo, s6, v14
	s_wait_alu 0xfffd
	v_add_co_ci_u32_e64 v11, null, s7, v15, vcc_lo
	scratch_load_b128 v[126:129], off, off offset:128 ; 16-byte Folded Reload
	global_load_b64 v[0:1], v[10:11], off offset:40
	s_wait_loadcnt 0x0
	scratch_store_b64 off, v[0:1], off offset:584 ; 8-byte Folded Spill
.LBB0_13:
	global_load_b64 v[160:161], v[16:17], off offset:40
	v_mov_b32_e32 v0, 0
	v_mov_b32_e32 v1, 0
	v_cmp_ne_u32_e32 vcc_lo, 1, v18
	scratch_store_b64 off, v[0:1], off offset:600 ; 8-byte Folded Spill
	v_mov_b32_e32 v0, 0
	v_mov_b32_e32 v1, 0
	scratch_store_b64 off, v[0:1], off offset:608 ; 8-byte Folded Spill
	s_cbranch_vccnz .LBB0_15
; %bb.14:
	v_add_co_u32 v12, vcc_lo, s6, v14
	s_wait_alu 0xfffd
	v_add_co_ci_u32_e64 v13, null, s7, v15, vcc_lo
	scratch_load_b128 v[126:129], off, off offset:128 ; 16-byte Folded Reload
	global_load_b64 v[0:1], v[12:13], off offset:48
	s_wait_loadcnt 0x0
	scratch_store_b64 off, v[0:1], off offset:608 ; 8-byte Folded Spill
.LBB0_15:
	global_load_b64 v[162:163], v[16:17], off offset:48
	v_cmp_ne_u32_e32 vcc_lo, 1, v18
	s_cbranch_vccnz .LBB0_17
; %bb.16:
	v_add_co_u32 v14, vcc_lo, s6, v14
	s_wait_alu 0xfffd
	v_add_co_ci_u32_e64 v15, null, s7, v15, vcc_lo
	global_load_b64 v[0:1], v[14:15], off offset:56
	s_wait_loadcnt 0x0
	scratch_store_b64 off, v[0:1], off offset:600 ; 8-byte Folded Spill
.LBB0_17:
	global_load_b64 v[164:165], v[16:17], off offset:56
	s_load_b32 s4, s[0:1], 0x38
	v_mov_b32_e32 v2, v31
	v_mov_b32_e32 v0, 0
	v_dual_mov_b32 v1, 0 :: v_dual_mov_b32 v8, v23
	v_mov_b32_e32 v9, v24
	s_delay_alu instid0(VALU_DEP_4)
	v_ashrrev_i32_e32 v3, 31, v2
	v_mov_b32_e32 v10, v25
	scratch_store_b64 off, v[0:1], off offset:2232 ; 8-byte Folded Spill
	v_dual_mov_b32 v0, 0 :: v_dual_mov_b32 v11, v26
	v_lshlrev_b64_e32 v[17:18], 3, v[2:3]
	v_mov_b32_e32 v1, 0
	scratch_store_b64 off, v[0:1], off offset:1344 ; 8-byte Folded Spill
	s_wait_kmcnt 0x0
	s_bitcmp0_b32 s4, 0
	s_cbranch_scc1 .LBB0_19
; %bb.18:
	s_load_b64 s[4:5], s[0:1], 0x40
	v_dual_mov_b32 v3, v17 :: v_dual_mov_b32 v4, v18
	s_wait_kmcnt 0x0
	v_add_co_u32 v16, vcc_lo, s4, v17
	s_wait_alu 0xfffd
	s_delay_alu instid0(VALU_DEP_2)
	v_add_co_ci_u32_e64 v17, null, s5, v4, vcc_lo
	global_load_b64 v[0:1], v[16:17], off
	v_dual_mov_b32 v18, v4 :: v_dual_mov_b32 v17, v3
	s_wait_loadcnt 0x0
	scratch_store_b64 off, v[0:1], off offset:1344 ; 8-byte Folded Spill
.LBB0_19:
	s_clause 0x2
	s_load_b32 s28, s[0:1], 0x8
	s_load_b64 s[8:9], s[0:1], 0x70
	s_load_b64 s[10:11], s[0:1], 0x60
	s_clause 0x1
	scratch_store_b128 off, v[122:125], off offset:16
	scratch_store_b128 off, v[118:121], off offset:32
	scratch_load_b128 v[4:7], off, off offset:256 ; 16-byte Folded Reload
	s_clause 0x8
	scratch_store_b128 off, v[146:149], off offset:320
	scratch_store_b128 off, v[8:11], off offset:648
	;; [unrolled: 1-line block ×8, first 2 shown]
	scratch_store_b64 off, v[2:3], off offset:2240
	s_wait_kmcnt 0x0
	s_cmp_lt_i32 s28, 1
	s_cbranch_scc1 .LBB0_36
; %bb.20:
	v_mov_b32_e32 v0, 0
	v_mov_b32_e32 v1, 0
	scratch_store_b64 off, v[17:18], off offset:2248 ; 8-byte Folded Spill
	s_clause 0x1
	s_load_b128 s[4:7], s[0:1], 0x50
	s_load_b64 s[12:13], s[0:1], 0x0
	v_mul_lo_u32 v16, v2, s28
	s_cmp_lg_u32 s2, 0
	scratch_store_b64 off, v[0:1], off offset:2232 ; 8-byte Folded Spill
	s_wait_loadcnt 0x0
	s_clause 0x1
	scratch_load_b128 v[4:7], off, off offset:368
	scratch_load_b128 v[146:149], off, off offset:616
	s_mov_b32 s14, 0xd7f4df2e
	s_mov_b32 s16, 0x16291751
	s_mov_b32 s18, 0x9b27acf1
	s_mov_b32 s20, 0x998ef7b6
	v_ashrrev_i32_e32 v17, 31, v16
	s_mov_b32 s24, 0xfefa39ef
	s_mov_b32 s26, 0x3b39803f
	;; [unrolled: 1-line block ×3, first 2 shown]
	s_cselect_b32 s30, -1, 0
	v_lshlrev_b64_e32 v[16:17], 3, v[16:17]
	s_mov_b32 s15, 0x3fc7474d
	s_mov_b32 s17, 0x3fcc71c0
	;; [unrolled: 1-line block ×5, first 2 shown]
	s_wait_kmcnt 0x0
	v_add_co_u32 v2, vcc_lo, s12, v16
	s_wait_alu 0xfffd
	v_add_co_ci_u32_e64 v3, null, s13, v17, vcc_lo
	v_add_co_u32 v20, vcc_lo, s4, v16
	s_wait_alu 0xfffd
	v_add_co_ci_u32_e64 v21, null, s5, v17, vcc_lo
	;; [unrolled: 3-line block ×3, first 2 shown]
	s_mov_b32 s4, 0x55555555
	s_mov_b32 s6, 0x6b47b09a
	;; [unrolled: 1-line block ×8, first 2 shown]
	s_lshl_b32 s31, s2, 1
.LBB0_21:                               ; =>This Inner Loop Header: Depth=1
	global_load_b64 v[16:17], v[2:3], off
	scratch_load_b128 v[142:145], off, off offset:176 ; 16-byte Folded Reload
	s_and_not1_b32 vcc_lo, exec_lo, s30
	scratch_store_b64 off, v[2:3], off offset:1352 ; 8-byte Folded Spill
	s_wait_alu 0xfffe
	s_cbranch_vccnz .LBB0_34
; %bb.22:                               ;   in Loop: Header=BB0_21 Depth=1
	scratch_load_b64 v[0:1], off, off offset:560 ; 8-byte Folded Reload
	s_wait_loadcnt 0x0
	v_fma_f64 v[18:19], -v[150:151], v[0:1], v[16:17]
	scratch_load_b64 v[0:1], off, off offset:552 ; 8-byte Folded Reload
	s_wait_loadcnt 0x0
	v_fma_f64 v[18:19], -v[152:153], v[0:1], v[18:19]
	;; [unrolled: 3-line block ×8, first 2 shown]
	s_cbranch_execnz .LBB0_24
.LBB0_23:                               ;   in Loop: Header=BB0_21 Depth=1
	s_wait_loadcnt 0x1
	v_add_f64_e64 v[30:31], v[16:17], -v[150:151]
.LBB0_24:                               ;   in Loop: Header=BB0_21 Depth=1
	v_dual_mov_b32 v2, v92 :: v_dual_mov_b32 v3, v93
	s_and_not1_b32 vcc_lo, exec_lo, s30
	global_store_b64 v[20:21], v[30:31], off
	s_wait_alu 0xfffe
	s_cbranch_vccnz .LBB0_26
; %bb.25:                               ;   in Loop: Header=BB0_21 Depth=1
	s_clause 0x2
	scratch_load_b64 v[2:3], off, off offset:560
	scratch_load_b64 v[0:1], off, off offset:552
	scratch_load_b128 v[26:29], off, off offset:528
	s_wait_loadcnt 0x6
	v_dual_mov_b32 v103, v7 :: v_dual_mov_b32 v102, v6
	v_dual_mov_b32 v101, v5 :: v_dual_mov_b32 v100, v4
	scratch_load_b64 v[6:7], off, off offset:576 ; 8-byte Folded Reload
	v_dual_mov_b32 v99, v11 :: v_dual_mov_b32 v98, v10
	v_dual_mov_b32 v97, v9 :: v_dual_mov_b32 v96, v8
	s_clause 0x4
	scratch_load_b64 v[10:11], off, off offset:592
	scratch_load_b64 v[4:5], off, off offset:568
	;; [unrolled: 1-line block ×5, first 2 shown]
	s_wait_loadcnt 0x8
	v_mul_f64_e32 v[16:17], v[92:93], v[2:3]
	v_mul_f64_e32 v[18:19], v[88:89], v[2:3]
	s_delay_alu instid0(VALU_DEP_2) | instskip(SKIP_1) | instid1(VALU_DEP_1)
	v_fma_f64 v[16:17], v[16:17], v[2:3], 0
	s_wait_loadcnt 0x7
	v_fma_f64 v[16:17], v[18:19], v[0:1], v[16:17]
	v_mul_f64_e32 v[18:19], v[84:85], v[2:3]
	s_wait_loadcnt 0x5
	s_delay_alu instid0(VALU_DEP_1) | instskip(SKIP_2) | instid1(VALU_DEP_1)
	v_fma_f64 v[16:17], v[18:19], v[6:7], v[16:17]
	v_mul_f64_e32 v[18:19], v[80:81], v[2:3]
	s_wait_loadcnt 0x3
	v_fma_f64 v[16:17], v[18:19], v[4:5], v[16:17]
	v_mul_f64_e32 v[18:19], v[26:27], v[2:3]
	scratch_load_b128 v[24:27], off, off offset:512 ; 16-byte Folded Reload
	v_fma_f64 v[16:17], v[18:19], v[10:11], v[16:17]
	s_wait_loadcnt 0x0
	v_mul_f64_e32 v[18:19], v[24:25], v[2:3]
	s_delay_alu instid0(VALU_DEP_1) | instskip(SKIP_1) | instid1(VALU_DEP_1)
	v_fma_f64 v[16:17], v[18:19], v[8:9], v[16:17]
	v_mul_f64_e32 v[18:19], v[130:131], v[2:3]
	v_fma_f64 v[16:17], v[18:19], v[14:15], v[16:17]
	v_mul_f64_e32 v[18:19], v[138:139], v[2:3]
	s_delay_alu instid0(VALU_DEP_1) | instskip(SKIP_1) | instid1(VALU_DEP_1)
	v_fma_f64 v[16:17], v[18:19], v[12:13], v[16:17]
	v_mul_f64_e32 v[18:19], v[94:95], v[0:1]
	v_fma_f64 v[16:17], v[18:19], v[2:3], v[16:17]
	;; [unrolled: 5-line block ×4, first 2 shown]
	v_mul_f64_e32 v[18:19], v[26:27], v[0:1]
	scratch_load_b128 v[24:27], off, off offset:496 ; 16-byte Folded Reload
	v_fma_f64 v[16:17], v[18:19], v[8:9], v[16:17]
	v_mul_f64_e32 v[18:19], v[132:133], v[0:1]
	s_delay_alu instid0(VALU_DEP_1) | instskip(SKIP_1) | instid1(VALU_DEP_1)
	v_fma_f64 v[16:17], v[18:19], v[14:15], v[16:17]
	v_mul_f64_e32 v[18:19], v[140:141], v[0:1]
	v_fma_f64 v[16:17], v[18:19], v[12:13], v[16:17]
	v_mul_f64_e32 v[18:19], v[76:77], v[6:7]
	s_delay_alu instid0(VALU_DEP_1) | instskip(SKIP_1) | instid1(VALU_DEP_1)
	v_fma_f64 v[16:17], v[18:19], v[2:3], v[16:17]
	v_mul_f64_e32 v[18:19], v[72:73], v[6:7]
	;; [unrolled: 5-line block ×3, first 2 shown]
	v_fma_f64 v[16:17], v[18:19], v[4:5], v[16:17]
	s_wait_loadcnt 0x0
	v_mul_f64_e32 v[18:19], v[24:25], v[6:7]
	s_delay_alu instid0(VALU_DEP_1) | instskip(SKIP_1) | instid1(VALU_DEP_1)
	v_fma_f64 v[16:17], v[18:19], v[10:11], v[16:17]
	v_mul_f64_e32 v[18:19], v[180:181], v[6:7]
	v_fma_f64 v[16:17], v[18:19], v[8:9], v[16:17]
	v_mul_f64_e32 v[18:19], v[134:135], v[6:7]
	s_delay_alu instid0(VALU_DEP_1) | instskip(SKIP_1) | instid1(VALU_DEP_1)
	v_fma_f64 v[16:17], v[18:19], v[14:15], v[16:17]
	v_mul_f64_e32 v[18:19], v[112:113], v[6:7]
	v_fma_f64 v[16:17], v[18:19], v[12:13], v[16:17]
	;; [unrolled: 5-line block ×20, first 2 shown]
	v_mul_f64_e32 v[18:19], v[168:169], v[12:13]
	v_dual_mov_b32 v4, v100 :: v_dual_mov_b32 v5, v101
	v_dual_mov_b32 v6, v102 :: v_dual_mov_b32 v7, v103
	s_delay_alu instid0(VALU_DEP_3) | instskip(SKIP_1) | instid1(VALU_DEP_1)
	v_fma_f64 v[16:17], v[18:19], v[10:11], v[16:17]
	v_mul_f64_e32 v[18:19], v[110:111], v[12:13]
	v_fma_f64 v[16:17], v[18:19], v[8:9], v[16:17]
	s_delay_alu instid0(VALU_DEP_4) | instskip(SKIP_2) | instid1(VALU_DEP_3)
	v_mul_f64_e32 v[18:19], v[6:7], v[12:13]
	v_dual_mov_b32 v8, v96 :: v_dual_mov_b32 v9, v97
	v_dual_mov_b32 v10, v98 :: v_dual_mov_b32 v11, v99
	v_fma_f64 v[16:17], v[18:19], v[14:15], v[16:17]
	v_mul_f64_e32 v[18:19], v[148:149], v[12:13]
	s_delay_alu instid0(VALU_DEP_1)
	v_fma_f64 v[2:3], v[18:19], v[12:13], v[16:17]
.LBB0_26:                               ;   in Loop: Header=BB0_21 Depth=1
	s_cmp_lt_i32 s29, s2
	global_store_b64 v[22:23], v[2:3], off
	s_wait_loadcnt 0x6
	scratch_store_b128 off, v[150:153], off offset:192 ; 16-byte Folded Spill
	s_wait_loadcnt 0x5
	scratch_store_b128 off, v[154:157], off offset:208 ; 16-byte Folded Spill
	;; [unrolled: 2-line block ×3, first 2 shown]
	s_wait_loadcnt 0x3
	s_clause 0x2
	scratch_store_b128 off, v[162:165], off offset:240
	scratch_store_b64 off, v[20:21], off offset:1360
	scratch_store_b64 off, v[22:23], off offset:1368
	s_wait_loadcnt 0x2
	s_clause 0xe
	scratch_store_b128 off, v[146:149], off offset:616
	scratch_store_b128 off, v[4:7], off offset:368
	;; [unrolled: 1-line block ×12, first 2 shown]
	scratch_store_b64 off, v[30:31], off offset:1472
	scratch_store_b64 off, v[2:3], off offset:1120
	scratch_store_b128 off, v[40:43], off offset:808
	s_cbranch_scc1 .LBB0_28
; %bb.27:                               ;   in Loop: Header=BB0_21 Depth=1
	v_frexp_mant_f64_e32 v[18:19], v[2:3]
	s_mov_b32 s23, s5
	v_frexp_exp_i32_f64_e32 v0, v[2:3]
	s_delay_alu instid0(VALU_DEP_2) | instskip(SKIP_2) | instid1(VALU_DEP_3)
	v_cmp_gt_f64_e32 vcc_lo, s[4:5], v[18:19]
	s_wait_alu 0xfffd
	v_cndmask_b32_e64 v1, 0, 1, vcc_lo
	v_subrev_co_ci_u32_e64 v0, null, 0, v0, vcc_lo
	v_cmp_class_f64_e64 vcc_lo, v[2:3], 0x204
	s_delay_alu instid0(VALU_DEP_3) | instskip(NEXT) | instid1(VALU_DEP_1)
	v_ldexp_f64 v[18:19], v[18:19], v1
	v_add_f64_e32 v[22:23], 1.0, v[18:19]
	v_add_f64_e32 v[20:21], -1.0, v[18:19]
	s_delay_alu instid0(VALU_DEP_2) | instskip(NEXT) | instid1(VALU_DEP_1)
	v_add_f64_e32 v[24:25], -1.0, v[22:23]
	v_add_f64_e64 v[18:19], v[18:19], -v[24:25]
	v_rcp_f64_e32 v[24:25], v[22:23]
	s_delay_alu instid0(TRANS32_DEP_1) | instskip(NEXT) | instid1(VALU_DEP_1)
	v_fma_f64 v[26:27], -v[22:23], v[24:25], 1.0
	v_fma_f64 v[24:25], v[26:27], v[24:25], v[24:25]
	s_delay_alu instid0(VALU_DEP_1) | instskip(NEXT) | instid1(VALU_DEP_1)
	v_fma_f64 v[26:27], -v[22:23], v[24:25], 1.0
	v_fma_f64 v[24:25], v[26:27], v[24:25], v[24:25]
	s_delay_alu instid0(VALU_DEP_1) | instskip(NEXT) | instid1(VALU_DEP_1)
	v_mul_f64_e32 v[26:27], v[20:21], v[24:25]
	v_mul_f64_e32 v[28:29], v[22:23], v[26:27]
	s_delay_alu instid0(VALU_DEP_1) | instskip(NEXT) | instid1(VALU_DEP_1)
	v_fma_f64 v[22:23], v[26:27], v[22:23], -v[28:29]
	v_fma_f64 v[18:19], v[26:27], v[18:19], v[22:23]
	s_delay_alu instid0(VALU_DEP_1) | instskip(NEXT) | instid1(VALU_DEP_1)
	v_add_f64_e32 v[22:23], v[28:29], v[18:19]
	v_add_f64_e64 v[30:31], v[20:21], -v[22:23]
	v_add_f64_e64 v[28:29], v[22:23], -v[28:29]
	s_delay_alu instid0(VALU_DEP_2) | instskip(NEXT) | instid1(VALU_DEP_2)
	v_add_f64_e64 v[20:21], v[20:21], -v[30:31]
	v_add_f64_e64 v[18:19], v[28:29], -v[18:19]
	s_delay_alu instid0(VALU_DEP_2) | instskip(NEXT) | instid1(VALU_DEP_1)
	v_add_f64_e64 v[20:21], v[20:21], -v[22:23]
	v_add_f64_e32 v[18:19], v[18:19], v[20:21]
	s_delay_alu instid0(VALU_DEP_1) | instskip(NEXT) | instid1(VALU_DEP_1)
	v_add_f64_e32 v[18:19], v[30:31], v[18:19]
	v_mul_f64_e32 v[18:19], v[24:25], v[18:19]
	s_delay_alu instid0(VALU_DEP_1) | instskip(NEXT) | instid1(VALU_DEP_1)
	v_add_f64_e32 v[20:21], v[26:27], v[18:19]
	v_add_f64_e64 v[22:23], v[20:21], -v[26:27]
	v_ldexp_f64 v[26:27], v[20:21], 1
	s_delay_alu instid0(VALU_DEP_2) | instskip(SKIP_1) | instid1(VALU_DEP_2)
	v_add_f64_e64 v[18:19], v[18:19], -v[22:23]
	v_mul_f64_e32 v[22:23], v[20:21], v[20:21]
	v_ldexp_f64 v[18:19], v[18:19], 1
	s_delay_alu instid0(VALU_DEP_2) | instskip(SKIP_1) | instid1(VALU_DEP_2)
	v_fma_f64 v[24:25], v[22:23], s[12:13], s[6:7]
	v_mul_f64_e32 v[20:21], v[20:21], v[22:23]
	v_fma_f64 v[24:25], v[22:23], v[24:25], s[14:15]
	s_delay_alu instid0(VALU_DEP_1) | instskip(NEXT) | instid1(VALU_DEP_1)
	v_fma_f64 v[24:25], v[22:23], v[24:25], s[16:17]
	v_fma_f64 v[24:25], v[22:23], v[24:25], s[18:19]
	s_delay_alu instid0(VALU_DEP_1) | instskip(SKIP_1) | instid1(VALU_DEP_1)
	v_fma_f64 v[24:25], v[22:23], v[24:25], s[20:21]
	s_wait_alu 0xfffe
	v_fma_f64 v[24:25], v[22:23], v[24:25], s[22:23]
	s_delay_alu instid0(VALU_DEP_1) | instskip(NEXT) | instid1(VALU_DEP_1)
	v_mul_f64_e32 v[20:21], v[20:21], v[24:25]
	v_add_f64_e32 v[22:23], v[26:27], v[20:21]
	s_delay_alu instid0(VALU_DEP_1) | instskip(NEXT) | instid1(VALU_DEP_1)
	v_add_f64_e64 v[24:25], v[22:23], -v[26:27]
	v_add_f64_e64 v[20:21], v[20:21], -v[24:25]
	s_delay_alu instid0(VALU_DEP_1) | instskip(NEXT) | instid1(VALU_DEP_1)
	v_add_f64_e32 v[18:19], v[18:19], v[20:21]
	v_add_f64_e32 v[20:21], v[22:23], v[18:19]
	s_delay_alu instid0(VALU_DEP_1) | instskip(NEXT) | instid1(VALU_DEP_1)
	v_add_f64_e64 v[22:23], v[20:21], -v[22:23]
	v_add_f64_e64 v[18:19], v[18:19], -v[22:23]
	v_cvt_f64_i32_e32 v[22:23], v0
	s_delay_alu instid0(VALU_DEP_1) | instskip(NEXT) | instid1(VALU_DEP_1)
	v_mul_f64_e32 v[24:25], s[24:25], v[22:23]
	v_fma_f64 v[26:27], v[22:23], s[24:25], -v[24:25]
	s_delay_alu instid0(VALU_DEP_1) | instskip(NEXT) | instid1(VALU_DEP_1)
	v_fma_f64 v[22:23], v[22:23], s[26:27], v[26:27]
	v_add_f64_e32 v[26:27], v[24:25], v[22:23]
	s_delay_alu instid0(VALU_DEP_1) | instskip(NEXT) | instid1(VALU_DEP_1)
	v_add_f64_e64 v[24:25], v[26:27], -v[24:25]
	v_add_f64_e64 v[22:23], v[22:23], -v[24:25]
	v_add_f64_e32 v[24:25], v[26:27], v[20:21]
	s_delay_alu instid0(VALU_DEP_1) | instskip(NEXT) | instid1(VALU_DEP_1)
	v_add_f64_e64 v[28:29], v[24:25], -v[26:27]
	v_add_f64_e64 v[30:31], v[24:25], -v[28:29]
	;; [unrolled: 1-line block ×3, first 2 shown]
	s_delay_alu instid0(VALU_DEP_2) | instskip(NEXT) | instid1(VALU_DEP_1)
	v_add_f64_e64 v[26:27], v[26:27], -v[30:31]
	v_add_f64_e32 v[20:21], v[20:21], v[26:27]
	v_add_f64_e32 v[26:27], v[22:23], v[18:19]
	s_delay_alu instid0(VALU_DEP_1) | instskip(NEXT) | instid1(VALU_DEP_3)
	v_add_f64_e64 v[28:29], v[26:27], -v[22:23]
	v_add_f64_e32 v[20:21], v[26:27], v[20:21]
	s_delay_alu instid0(VALU_DEP_2) | instskip(SKIP_1) | instid1(VALU_DEP_2)
	v_add_f64_e64 v[30:31], v[26:27], -v[28:29]
	v_add_f64_e64 v[18:19], v[18:19], -v[28:29]
	;; [unrolled: 1-line block ×3, first 2 shown]
	s_delay_alu instid0(VALU_DEP_1) | instskip(SKIP_1) | instid1(VALU_DEP_1)
	v_add_f64_e32 v[18:19], v[18:19], v[22:23]
	v_add_f64_e32 v[22:23], v[24:25], v[20:21]
	v_add_f64_e64 v[24:25], v[22:23], -v[24:25]
	s_delay_alu instid0(VALU_DEP_1) | instskip(NEXT) | instid1(VALU_DEP_1)
	v_add_f64_e64 v[20:21], v[20:21], -v[24:25]
	v_add_f64_e32 v[18:19], v[18:19], v[20:21]
	s_delay_alu instid0(VALU_DEP_1) | instskip(SKIP_1) | instid1(VALU_DEP_1)
	v_add_f64_e32 v[18:19], v[22:23], v[18:19]
	s_wait_alu 0xfffd
	v_dual_cndmask_b32 v0, v18, v2 :: v_dual_cndmask_b32 v1, v19, v3
	v_cmp_ngt_f64_e32 vcc_lo, 0, v[2:3]
	s_wait_alu 0xfffd
	s_delay_alu instid0(VALU_DEP_2)
	v_cndmask_b32_e32 v1, 0x7ff80000, v1, vcc_lo
	v_cmp_nge_f64_e32 vcc_lo, 0, v[2:3]
	s_wait_alu 0xfffd
	v_cndmask_b32_e32 v18, 0, v0, vcc_lo
	v_cmp_neq_f64_e32 vcc_lo, 0, v[2:3]
	s_wait_alu 0xfffd
	v_cndmask_b32_e32 v19, 0xfff00000, v1, vcc_lo
	scratch_load_b64 v[0:1], off, off offset:2232 ; 8-byte Folded Reload
	s_wait_loadcnt 0x0
	v_add_f64_e32 v[0:1], v[0:1], v[18:19]
	scratch_store_b64 off, v[0:1], off offset:2232 ; 8-byte Folded Spill
.LBB0_28:                               ;   in Loop: Header=BB0_21 Depth=1
	s_clause 0x2
	scratch_load_b128 v[0:3], off, off offset:160
	scratch_load_b128 v[156:159], off, off offset:288
	;; [unrolled: 1-line block ×3, first 2 shown]
	s_wait_loadcnt 0x4
	s_clause 0x1
	scratch_load_b128 v[14:17], off, off offset:144
	scratch_load_b128 v[168:171], off, off offset:384
	s_wait_loadcnt 0x5
	scratch_load_b128 v[140:143], off, off offset:400 ; 16-byte Folded Reload
	v_fma_f64 v[22:23], v[126:127], v[92:93], 0
	v_fma_f64 v[24:25], v[128:129], v[92:93], 0
	;; [unrolled: 1-line block ×6, first 2 shown]
	s_clause 0x2
	scratch_load_b128 v[164:167], off, off offset:304
	scratch_load_b128 v[146:149], off, off offset:320
	scratch_load_b128 v[176:179], off, off offset:416
	v_dual_mov_b32 v175, v11 :: v_dual_mov_b32 v174, v10
	v_dual_mov_b32 v173, v9 :: v_dual_mov_b32 v172, v8
	s_and_not1_b32 vcc_lo, exec_lo, s30
	s_clause 0x3
	scratch_load_b128 v[150:153], off, off offset:272
	scratch_load_b128 v[160:163], off, off offset:96
	;; [unrolled: 1-line block ×4, first 2 shown]
	v_fma_f64 v[22:23], v[118:119], v[94:95], v[22:23]
	v_fma_f64 v[24:25], v[120:121], v[94:95], v[24:25]
	;; [unrolled: 1-line block ×6, first 2 shown]
	s_wait_loadcnt 0xc
	v_fma_f64 v[18:19], v[0:1], v[92:93], 0
	v_fma_f64 v[20:21], v[2:3], v[92:93], 0
	v_fma_f64 v[98:99], v[2:3], v[88:89], 0
	s_wait_loadcnt 0x9
	v_dual_mov_b32 v137, v17 :: v_dual_mov_b32 v136, v16
	v_fma_f64 v[26:27], v[14:15], v[92:93], 0
	v_fma_f64 v[28:29], v[16:17], v[92:93], 0
	;; [unrolled: 1-line block ×5, first 2 shown]
	v_dual_mov_b32 v135, v15 :: v_dual_mov_b32 v134, v14
	v_fma_f64 v[110:111], v[2:3], v[84:85], 0
	v_fma_f64 v[120:121], v[2:3], v[80:81], 0
	s_wait_loadcnt 0x7
	v_fma_f64 v[22:23], v[140:141], v[76:77], v[22:23]
	v_fma_f64 v[24:25], v[142:143], v[76:77], v[24:25]
	;; [unrolled: 1-line block ×4, first 2 shown]
	scratch_load_b128 v[18:21], off, off offset:80 ; 16-byte Folded Reload
	v_fma_f64 v[98:99], v[6:7], v[90:91], v[98:99]
	v_fma_f64 v[26:27], v[122:123], v[94:95], v[26:27]
	;; [unrolled: 1-line block ×9, first 2 shown]
	s_wait_loadcnt 0x3
	v_fma_f64 v[22:23], v[160:161], v[78:79], v[22:23]
	v_fma_f64 v[24:25], v[162:163], v[78:79], v[24:25]
	;; [unrolled: 1-line block ×4, first 2 shown]
	s_delay_alu instid0(VALU_DEP_2) | instskip(NEXT) | instid1(VALU_DEP_2)
	v_fma_f64 v[26:27], v[156:157], v[78:79], v[26:27]
	v_fma_f64 v[28:29], v[158:159], v[78:79], v[28:29]
	s_delay_alu instid0(VALU_DEP_2) | instskip(NEXT) | instid1(VALU_DEP_2)
	v_fma_f64 v[26:27], v[8:9], v[60:61], v[26:27]
	v_fma_f64 v[28:29], v[10:11], v[60:61], v[28:29]
	scratch_load_b128 v[8:11], off, off     ; 16-byte Folded Reload
	s_wait_loadcnt 0x1
	v_dual_mov_b32 v133, v21 :: v_dual_mov_b32 v132, v20
	v_fma_f64 v[30:31], v[18:19], v[92:93], 0
	v_fma_f64 v[108:109], v[18:19], v[88:89], 0
	v_dual_mov_b32 v131, v19 :: v_dual_mov_b32 v130, v18
	v_fma_f64 v[18:19], v[14:15], v[84:85], 0
	scratch_load_b128 v[14:17], off, off offset:32 ; 16-byte Folded Reload
	v_fma_f64 v[92:93], v[20:21], v[92:93], 0
	v_fma_f64 v[118:119], v[130:131], v[84:85], 0
	v_fma_f64 v[96:97], v[130:131], v[80:81], 0
	v_fma_f64 v[30:31], v[168:169], v[94:95], v[30:31]
	v_fma_f64 v[108:109], v[168:169], v[90:91], v[108:109]
	v_fma_f64 v[18:19], v[122:123], v[86:87], v[18:19]
	v_fma_f64 v[122:123], v[126:127], v[80:81], 0
	v_fma_f64 v[92:93], v[170:171], v[94:95], v[92:93]
	v_fma_f64 v[94:95], v[0:1], v[88:89], 0
	v_fma_f64 v[88:89], v[20:21], v[88:89], 0
	v_fma_f64 v[20:21], v[136:137], v[80:81], 0
	scratch_load_b128 v[136:139], off, off offset:112 ; 16-byte Folded Reload
	v_fma_f64 v[118:119], v[168:169], v[86:87], v[118:119]
	v_fma_f64 v[126:127], v[134:135], v[80:81], 0
	;; [unrolled: 1-line block ×9, first 2 shown]
	s_delay_alu instid0(VALU_DEP_3) | instskip(NEXT) | instid1(VALU_DEP_3)
	v_fma_f64 v[90:91], v[4:5], v[86:87], v[90:91]
	v_fma_f64 v[84:85], v[170:171], v[86:87], v[84:85]
	;; [unrolled: 1-line block ×4, first 2 shown]
	scratch_load_b128 v[132:135], off, off offset:48 ; 16-byte Folded Reload
	v_fma_f64 v[18:19], v[172:173], v[52:53], v[18:19]
	v_fma_f64 v[86:87], v[4:5], v[82:83], v[86:87]
	scratch_load_b128 v[4:7], off, off offset:256 ; 16-byte Folded Reload
	v_fma_f64 v[80:81], v[170:171], v[82:83], v[80:81]
	s_wait_loadcnt 0x3
	v_fma_f64 v[122:123], v[14:15], v[82:83], v[122:123]
	scratch_load_b128 v[14:17], off, off offset:32 ; 16-byte Folded Reload
	s_wait_loadcnt 0x1
	v_fma_f64 v[30:31], v[4:5], v[76:77], v[30:31]
	v_fma_f64 v[96:97], v[4:5], v[64:65], v[96:97]
	s_delay_alu instid0(VALU_DEP_2) | instskip(NEXT) | instid1(VALU_DEP_2)
	v_fma_f64 v[30:31], v[136:137], v[78:79], v[30:31]
	v_fma_f64 v[96:97], v[136:137], v[66:67], v[96:97]
	s_delay_alu instid0(VALU_DEP_2) | instskip(NEXT) | instid1(VALU_DEP_1)
	v_fma_f64 v[30:31], v[146:147], v[60:61], v[30:31]
	v_fma_f64 v[30:31], v[184:185], v[62:63], v[30:31]
	s_wait_loadcnt 0x0
	v_fma_f64 v[124:125], v[16:17], v[82:83], v[124:125]
	scratch_load_b128 v[14:17], off, off offset:16 ; 16-byte Folded Reload
	s_wait_loadcnt 0x0
	v_fma_f64 v[126:127], v[14:15], v[82:83], v[126:127]
	scratch_load_b128 v[14:17], off, off offset:16 ; 16-byte Folded Reload
	s_wait_loadcnt 0x0
	v_fma_f64 v[20:21], v[16:17], v[82:83], v[20:21]
	v_fma_f64 v[82:83], v[132:133], v[76:77], v[12:13]
	;; [unrolled: 1-line block ×9, first 2 shown]
	scratch_load_b128 v[126:129], off, off offset:632 ; 16-byte Folded Reload
	v_fma_f64 v[20:21], v[152:153], v[64:65], v[20:21]
	v_fma_f64 v[82:83], v[164:165], v[78:79], v[82:83]
	v_fma_f64 v[16:17], v[166:167], v[78:79], v[16:17]
	v_fma_f64 v[76:77], v[138:139], v[78:79], v[76:77]
	v_fma_f64 v[78:79], v[132:133], v[72:73], v[94:95]
	v_fma_f64 v[94:95], v[140:141], v[72:73], v[100:101]
	v_fma_f64 v[100:101], v[150:151], v[72:73], v[104:105]
	v_fma_f64 v[104:105], v[4:5], v[72:73], v[108:109]
	v_fma_f64 v[72:73], v[6:7], v[72:73], v[88:89]
	v_fma_f64 v[88:89], v[166:167], v[74:75], v[92:93]
	v_fma_f64 v[108:109], v[152:153], v[68:69], v[116:117]
	v_fma_f64 v[20:21], v[158:159], v[66:67], v[20:21]
	v_fma_f64 v[78:79], v[164:165], v[74:75], v[78:79]
	v_fma_f64 v[92:93], v[160:161], v[74:75], v[94:95]
	v_fma_f64 v[94:95], v[162:163], v[74:75], v[98:99]
	v_fma_f64 v[98:99], v[156:157], v[74:75], v[100:101]
	v_fma_f64 v[100:101], v[158:159], v[74:75], v[102:103]
	v_fma_f64 v[102:103], v[136:137], v[74:75], v[104:105]
	v_fma_f64 v[72:73], v[138:139], v[74:75], v[72:73]
	v_fma_f64 v[74:75], v[132:133], v[68:69], v[90:91]
	v_fma_f64 v[90:91], v[134:135], v[68:69], v[110:111]
	v_fma_f64 v[104:105], v[140:141], v[68:69], v[112:113]
	v_fma_f64 v[110:111], v[4:5], v[68:69], v[118:119]
	v_fma_f64 v[68:69], v[6:7], v[68:69], v[84:85]
	v_fma_f64 v[12:13], v[158:159], v[70:71], v[108:109]
	v_fma_f64 v[112:113], v[142:143], v[64:65], v[124:125]
	v_fma_f64 v[20:21], v[174:175], v[48:49], v[20:21]
	v_fma_f64 v[74:75], v[164:165], v[70:71], v[74:75]
	v_fma_f64 v[84:85], v[166:167], v[70:71], v[90:91]
	v_fma_f64 v[90:91], v[160:161], v[70:71], v[104:105]
	v_fma_f64 v[104:105], v[162:163], v[70:71], v[106:107]
	v_fma_f64 v[14:15], v[136:137], v[70:71], v[110:111]
	v_fma_f64 v[68:69], v[138:139], v[70:71], v[68:69]
	v_fma_f64 v[70:71], v[132:133], v[64:65], v[86:87]
	v_fma_f64 v[86:87], v[134:135], v[64:65], v[120:121]
	v_fma_f64 v[110:111], v[140:141], v[64:65], v[122:123]
	s_clause 0x1
	scratch_load_b128 v[118:121], off, off offset:352
	scratch_load_b128 v[122:125], off, off offset:432
	v_fma_f64 v[64:65], v[6:7], v[64:65], v[80:81]
	v_fma_f64 v[22:23], v[176:177], v[60:61], v[22:23]
	v_fma_f64 v[24:25], v[178:179], v[60:61], v[24:25]
	scratch_load_b128 v[106:109], off, off offset:32 ; 16-byte Folded Reload
	v_fma_f64 v[70:71], v[164:165], v[66:67], v[70:71]
	v_fma_f64 v[80:81], v[166:167], v[66:67], v[86:87]
	;; [unrolled: 1-line block ×8, first 2 shown]
	s_wait_loadcnt 0x3
	v_fma_f64 v[66:67], v[126:127], v[60:61], v[82:83]
	v_fma_f64 v[16:17], v[128:129], v[60:61], v[16:17]
	;; [unrolled: 1-line block ×10, first 2 shown]
	s_delay_alu instid0(VALU_DEP_3)
	v_fma_f64 v[98:99], v[184:185], v[54:55], v[98:99]
	s_wait_loadcnt 0x2
	v_fma_f64 v[66:67], v[118:119], v[62:63], v[66:67]
	v_fma_f64 v[16:17], v[120:121], v[62:63], v[16:17]
	s_wait_loadcnt 0x1
	v_fma_f64 v[26:27], v[122:123], v[62:63], v[26:27]
	v_fma_f64 v[28:29], v[124:125], v[62:63], v[28:29]
	;; [unrolled: 1-line block ×13, first 2 shown]
	scratch_load_b128 v[12:15], off, off offset:464 ; 16-byte Folded Reload
	v_fma_f64 v[56:57], v[186:187], v[58:59], v[56:57]
	v_fma_f64 v[58:59], v[126:127], v[52:53], v[74:75]
	;; [unrolled: 1-line block ×25, first 2 shown]
	s_clause 0x1
	scratch_load_b128 v[79:82], off, off offset:480
	scratch_load_b128 v[68:71], off, off offset:448
	v_fma_f64 v[74:75], v[190:191], v[50:51], v[74:75]
	v_fma_f64 v[114:115], v[184:185], v[50:51], v[84:85]
	;; [unrolled: 1-line block ×3, first 2 shown]
	scratch_load_b128 v[49:52], off, off offset:680 ; 16-byte Folded Reload
	s_wait_loadcnt 0x3
	v_fma_f64 v[18:19], v[12:13], v[44:45], v[66:67]
	scratch_load_b128 v[64:67], off, off offset:696 ; 16-byte Folded Reload
	v_fma_f64 v[16:17], v[14:15], v[44:45], v[16:17]
	s_wait_loadcnt 0x3
	v_fma_f64 v[2:3], v[79:80], v[46:47], v[18:19]
	s_wait_loadcnt 0x2
	v_fma_f64 v[20:21], v[68:69], v[44:45], v[22:23]
	v_fma_f64 v[22:23], v[70:71], v[44:45], v[24:25]
	s_wait_loadcnt 0x1
	v_fma_f64 v[40:41], v[51:52], v[36:37], v[56:57]
	scratch_store_b64 off, v[2:3], off offset:976 ; 8-byte Folded Spill
	v_fma_f64 v[2:3], v[81:82], v[46:47], v[16:17]
	v_fma_f64 v[16:17], v[12:13], v[36:37], v[62:63]
	scratch_store_b64 off, v[2:3], off offset:944 ; 8-byte Folded Spill
	s_wait_loadcnt 0x0
	v_fma_f64 v[24:25], v[64:65], v[44:45], v[26:27]
	v_fma_f64 v[26:27], v[66:67], v[44:45], v[28:29]
	;; [unrolled: 1-line block ×4, first 2 shown]
	scratch_load_b128 v[60:63], off, off    ; 16-byte Folded Reload
	v_fma_f64 v[2:3], v[8:9], v[46:47], v[20:21]
	v_fma_f64 v[44:45], v[49:50], v[36:37], v[92:93]
	scratch_store_b64 off, v[2:3], off offset:544 ; 8-byte Folded Spill
	v_fma_f64 v[2:3], v[10:11], v[46:47], v[22:23]
	scratch_load_b128 v[8:11], off, off offset:712 ; 16-byte Folded Reload
	v_fma_f64 v[21:22], v[14:15], v[36:37], v[72:73]
	scratch_store_b64 off, v[2:3], off offset:896 ; 8-byte Folded Spill
	v_fma_f64 v[2:3], v[180:181], v[46:47], v[24:25]
	v_fma_f64 v[23:24], v[68:69], v[36:37], v[76:77]
	scratch_store_b64 off, v[2:3], off offset:864 ; 8-byte Folded Spill
	v_fma_f64 v[2:3], v[182:183], v[46:47], v[26:27]
	v_fma_f64 v[25:26], v[70:71], v[36:37], v[130:131]
	scratch_store_b64 off, v[2:3], off offset:848 ; 8-byte Folded Spill
	s_wait_loadcnt 0x0
	v_fma_f64 v[2:3], v[8:9], v[46:47], v[28:29]
	v_fma_f64 v[27:28], v[64:65], v[36:37], v[144:145]
	scratch_store_b64 off, v[2:3], off offset:840 ; 8-byte Folded Spill
	v_fma_f64 v[2:3], v[10:11], v[46:47], v[30:31]
	v_fma_f64 v[29:30], v[66:67], v[36:37], v[88:89]
	scratch_store_b64 off, v[2:3], off offset:832 ; 8-byte Folded Spill
	v_fma_f64 v[2:3], v[79:80], v[38:39], v[16:17]
	v_fma_f64 v[16:17], v[8:9], v[38:39], v[44:45]
	scratch_load_b128 v[42:45], off, off    ; 16-byte Folded Reload
	scratch_store_b64 off, v[2:3], off offset:984 ; 8-byte Folded Spill
	v_fma_f64 v[2:3], v[81:82], v[38:39], v[21:22]
	scratch_store_b64 off, v[2:3], off offset:952 ; 8-byte Folded Spill
	v_fma_f64 v[2:3], v[60:61], v[38:39], v[23:24]
	scratch_load_b128 v[20:23], off, off    ; 16-byte Folded Reload
	scratch_store_b64 off, v[2:3], off offset:920 ; 8-byte Folded Spill
	s_wait_loadcnt 0x0
	v_fma_f64 v[2:3], v[22:23], v[38:39], v[25:26]
	scratch_store_b64 off, v[2:3], off offset:904 ; 8-byte Folded Spill
	v_fma_f64 v[2:3], v[180:181], v[38:39], v[27:28]
	scratch_store_b64 off, v[2:3], off offset:872 ; 8-byte Folded Spill
	;; [unrolled: 2-line block ×3, first 2 shown]
	v_fma_f64 v[2:3], v[10:11], v[38:39], v[40:41]
	scratch_load_b128 v[36:39], off, off offset:808 th:TH_LOAD_LU ; 16-byte Folded Reload
	s_clause 0x1
	scratch_store_b64 off, v[16:17], off offset:1232
	scratch_store_b64 off, v[2:3], off offset:824
	s_wait_loadcnt 0x0
	v_fma_f64 v[16:17], v[12:13], v[36:37], v[58:59]
	v_fma_f64 v[21:22], v[14:15], v[36:37], v[100:101]
	;; [unrolled: 1-line block ×13, first 2 shown]
	scratch_store_b64 off, v[2:3], off offset:992 ; 8-byte Folded Spill
	v_fma_f64 v[2:3], v[81:82], v[38:39], v[21:22]
	scratch_store_b64 off, v[2:3], off offset:960 ; 8-byte Folded Spill
	v_fma_f64 v[2:3], v[42:43], v[38:39], v[23:24]
	scratch_load_b128 v[20:23], off, off    ; 16-byte Folded Reload
	scratch_store_b64 off, v[2:3], off offset:928 ; 8-byte Folded Spill
	s_wait_loadcnt 0x0
	v_fma_f64 v[2:3], v[22:23], v[38:39], v[25:26]
	v_fma_f64 v[21:22], v[14:15], v[32:33], v[96:97]
	;; [unrolled: 1-line block ×6, first 2 shown]
	scratch_store_b64 off, v[2:3], off offset:1288 ; 8-byte Folded Spill
	v_fma_f64 v[2:3], v[180:181], v[38:39], v[27:28]
	v_fma_f64 v[27:28], v[64:65], v[32:33], v[110:111]
	scratch_store_b64 off, v[0:1], off offset:1000 ; 8-byte Folded Spill
	v_fma_f64 v[0:1], v[81:82], v[34:35], v[21:22]
	s_clause 0x1
	scratch_store_b64 off, v[16:17], off offset:1160
	scratch_store_b64 off, v[2:3], off offset:880
	v_fma_f64 v[2:3], v[10:11], v[38:39], v[36:37]
	scratch_load_b128 v[38:41], off, off    ; 16-byte Folded Reload
	scratch_store_b64 off, v[0:1], off offset:968 ; 8-byte Folded Spill
	v_fma_f64 v[36:37], v[49:50], v[32:33], v[114:115]
	v_fma_f64 v[31:32], v[51:52], v[32:33], v[116:117]
	s_delay_alu instid0(VALU_DEP_2)
	v_fma_f64 v[16:17], v[8:9], v[34:35], v[36:37]
	scratch_store_b64 off, v[16:17], off offset:1016 ; 8-byte Folded Spill
	s_wait_loadcnt 0x0
	v_fma_f64 v[0:1], v[38:39], v[34:35], v[23:24]
	scratch_load_b128 v[20:23], off, off    ; 16-byte Folded Reload
	scratch_store_b64 off, v[0:1], off offset:936 ; 8-byte Folded Spill
	s_wait_loadcnt 0x0
	v_fma_f64 v[0:1], v[22:23], v[34:35], v[25:26]
	scratch_store_b64 off, v[0:1], off offset:912 ; 8-byte Folded Spill
	v_fma_f64 v[0:1], v[180:181], v[34:35], v[27:28]
	scratch_store_b64 off, v[0:1], off offset:888 ; 8-byte Folded Spill
	v_fma_f64 v[0:1], v[10:11], v[34:35], v[31:32]
	s_clause 0x1
	scratch_store_b64 off, v[2:3], off offset:1008
	scratch_store_b64 off, v[0:1], off offset:808
	s_clause 0xa
	scratch_load_b128 v[33:36], off, off offset:528 th:TH_LOAD_LU
	scratch_load_b128 v[23:26], off, off offset:160
	scratch_load_b128 v[0:3], off, off offset:128
	;; [unrolled: 1-line block ×4, first 2 shown]
	scratch_load_b128 v[75:78], off, off
	scratch_load_b128 v[57:60], off, off offset:512 th:TH_LOAD_LU
	scratch_load_b128 v[86:89], off, off offset:1072 th:TH_LOAD_LU
	scratch_load_b128 v[90:93], off, off offset:64
	scratch_load_b128 v[37:40], off, off offset:80
	scratch_load_b128 v[102:105], off, off offset:1056 th:TH_LOAD_LU
	s_wait_loadcnt 0x9
	v_dual_mov_b32 v99, v26 :: v_dual_mov_b32 v98, v25
	s_wait_loadcnt 0x7
	v_fma_f64 v[29:30], v[114:115], v[33:34], 0
	s_wait_loadcnt 0x6
	v_dual_mov_b32 v48, v44 :: v_dual_mov_b32 v47, v43
	v_dual_mov_b32 v46, v42 :: v_dual_mov_b32 v45, v41
	v_fma_f64 v[16:17], v[23:24], v[33:34], 0
	v_fma_f64 v[21:22], v[25:26], v[33:34], 0
	v_dual_mov_b32 v97, v24 :: v_dual_mov_b32 v96, v23
	v_fma_f64 v[23:24], v[0:1], v[33:34], 0
	v_fma_f64 v[25:26], v[2:3], v[33:34], 0
	;; [unrolled: 1-line block ×3, first 2 shown]
	s_wait_loadcnt 0x1
	v_fma_f64 v[31:32], v[37:38], v[33:34], 0
	v_fma_f64 v[33:34], v[39:40], v[33:34], 0
	v_dual_mov_b32 v56, v40 :: v_dual_mov_b32 v55, v39
	v_dual_mov_b32 v54, v38 :: v_dual_mov_b32 v53, v37
	v_fma_f64 v[37:38], v[98:99], v[57:58], 0
	v_fma_f64 v[39:40], v[0:1], v[57:58], 0
	;; [unrolled: 1-line block ×19, first 2 shown]
	s_delay_alu instid0(VALU_DEP_3) | instskip(SKIP_2) | instid1(VALU_DEP_2)
	v_fma_f64 v[45:46], v[47:48], v[59:60], v[45:46]
	v_fma_f64 v[47:48], v[53:54], v[57:58], 0
	;; [unrolled: 1-line block ×4, first 2 shown]
	s_delay_alu instid0(VALU_DEP_2)
	v_fma_f64 v[53:54], v[170:171], v[59:60], v[53:54]
	scratch_load_b128 v[57:60], off, off offset:496 th:TH_LOAD_LU ; 16-byte Folded Reload
	s_wait_loadcnt 0x0
	v_fma_f64 v[16:17], v[132:133], v[57:58], v[16:17]
	v_fma_f64 v[21:22], v[134:135], v[57:58], v[21:22]
	v_fma_f64 v[23:24], v[140:141], v[57:58], v[23:24]
	v_fma_f64 v[25:26], v[142:143], v[57:58], v[25:26]
	v_fma_f64 v[27:28], v[150:151], v[57:58], v[27:28]
	v_fma_f64 v[29:30], v[152:153], v[57:58], v[29:30]
	v_fma_f64 v[31:32], v[4:5], v[57:58], v[31:32]
	v_fma_f64 v[33:34], v[6:7], v[57:58], v[33:34]
	v_fma_f64 v[16:17], v[164:165], v[59:60], v[16:17]
	v_fma_f64 v[21:22], v[166:167], v[59:60], v[21:22]
	v_fma_f64 v[23:24], v[160:161], v[59:60], v[23:24]
	v_fma_f64 v[25:26], v[162:163], v[59:60], v[25:26]
	v_fma_f64 v[27:28], v[156:157], v[59:60], v[27:28]
	v_fma_f64 v[29:30], v[158:159], v[59:60], v[29:30]
	v_fma_f64 v[31:32], v[136:137], v[59:60], v[31:32]
	v_fma_f64 v[33:34], v[138:139], v[59:60], v[33:34]
	scratch_load_b128 v[57:60], off, off offset:1104 th:TH_LOAD_LU ; 16-byte Folded Reload
	s_wait_loadcnt 0x0
	v_fma_f64 v[35:36], v[132:133], v[57:58], v[35:36]
	v_fma_f64 v[37:38], v[134:135], v[57:58], v[37:38]
	v_fma_f64 v[39:40], v[140:141], v[57:58], v[39:40]
	v_fma_f64 v[41:42], v[142:143], v[57:58], v[41:42]
	v_fma_f64 v[43:44], v[150:151], v[57:58], v[43:44]
	v_fma_f64 v[45:46], v[152:153], v[57:58], v[45:46]
	v_fma_f64 v[47:48], v[4:5], v[57:58], v[47:48]
	v_fma_f64 v[53:54], v[6:7], v[57:58], v[53:54]
	v_fma_f64 v[35:36], v[164:165], v[59:60], v[35:36]
	v_fma_f64 v[37:38], v[166:167], v[59:60], v[37:38]
	v_fma_f64 v[39:40], v[160:161], v[59:60], v[39:40]
	v_fma_f64 v[41:42], v[162:163], v[59:60], v[41:42]
	v_fma_f64 v[43:44], v[156:157], v[59:60], v[43:44]
	v_fma_f64 v[45:46], v[158:159], v[59:60], v[45:46]
	v_fma_f64 v[47:48], v[136:137], v[59:60], v[47:48]
	;; [unrolled: 18-line block ×3, first 2 shown]
	v_fma_f64 v[33:34], v[186:187], v[59:60], v[33:34]
	scratch_load_b128 v[57:60], off, off offset:792 th:TH_LOAD_LU ; 16-byte Folded Reload
	v_fma_f64 v[21:22], v[14:15], v[86:87], v[21:22]
	v_fma_f64 v[23:24], v[68:69], v[86:87], v[23:24]
	;; [unrolled: 1-line block ×10, first 2 shown]
	scratch_load_b128 v[20:23], off, off    ; 16-byte Folded Reload
	v_fma_f64 v[75:76], v[182:183], v[88:89], v[29:30]
	v_fma_f64 v[144:145], v[8:9], v[88:89], v[31:32]
	;; [unrolled: 1-line block ×3, first 2 shown]
	s_wait_loadcnt 0x1
	v_fma_f64 v[35:36], v[126:127], v[57:58], v[35:36]
	v_fma_f64 v[37:38], v[128:129], v[57:58], v[37:38]
	;; [unrolled: 1-line block ×17, first 2 shown]
	scratch_load_b128 v[59:62], off, off offset:80 ; 16-byte Folded Reload
	s_wait_loadcnt 0x1
	v_fma_f64 v[16:17], v[22:23], v[88:89], v[25:26]
	v_fma_f64 v[21:22], v[14:15], v[102:103], v[37:38]
	;; [unrolled: 1-line block ×7, first 2 shown]
	scratch_store_b64 off, v[16:17], off offset:512 ; 8-byte Folded Spill
	v_fma_f64 v[16:17], v[180:181], v[88:89], v[27:28]
	v_fma_f64 v[27:28], v[64:65], v[102:103], v[43:44]
	v_fma_f64 v[110:111], v[81:82], v[104:105], v[21:22]
	v_fma_f64 v[57:58], v[182:183], v[104:105], v[29:30]
	v_fma_f64 v[87:88], v[8:9], v[104:105], v[31:32]
	v_fma_f64 v[77:78], v[10:11], v[104:105], v[33:34]
	scratch_store_b64 off, v[16:17], off offset:496 ; 8-byte Folded Spill
	v_fma_f64 v[16:17], v[12:13], v[102:103], v[35:36]
	scratch_load_b128 v[35:38], off, off    ; 16-byte Folded Reload
	v_fma_f64 v[16:17], v[79:80], v[104:105], v[16:17]
	scratch_store_b64 off, v[16:17], off offset:1328 ; 8-byte Folded Spill
	v_fma_f64 v[16:17], v[180:181], v[104:105], v[27:28]
	scratch_store_b64 off, v[16:17], off offset:1296 ; 8-byte Folded Spill
	s_wait_loadcnt 0x0
	v_fma_f64 v[83:84], v[35:36], v[104:105], v[23:24]
	s_clause 0x1
	scratch_load_b128 v[20:23], off, off
	scratch_load_b128 v[33:36], off, off offset:1040 th:TH_LOAD_LU
	s_wait_loadcnt 0x1
	v_fma_f64 v[55:56], v[22:23], v[104:105], v[25:26]
	s_wait_loadcnt 0x0
	v_fma_f64 v[21:22], v[98:99], v[33:34], 0
	v_fma_f64 v[23:24], v[0:1], v[33:34], 0
	scratch_load_b128 v[102:105], off, off offset:1024 th:TH_LOAD_LU ; 16-byte Folded Reload
	v_fma_f64 v[16:17], v[96:97], v[33:34], 0
	v_fma_f64 v[25:26], v[2:3], v[33:34], 0
	;; [unrolled: 1-line block ×8, first 2 shown]
	scratch_load_b128 v[20:23], off, off offset:16 ; 16-byte Folded Reload
	v_fma_f64 v[16:17], v[90:91], v[35:36], v[16:17]
	v_fma_f64 v[25:26], v[108:109], v[35:36], v[25:26]
	;; [unrolled: 1-line block ×4, first 2 shown]
	s_wait_loadcnt 0x1
	v_fma_f64 v[37:38], v[98:99], v[102:103], 0
	v_fma_f64 v[39:40], v[0:1], v[102:103], 0
	;; [unrolled: 1-line block ×6, first 2 shown]
	v_dual_mov_b32 v99, v58 :: v_dual_mov_b32 v98, v57
	v_fma_f64 v[57:58], v[61:62], v[102:103], 0
	v_dual_mov_b32 v114, v168 :: v_dual_mov_b32 v115, v169
	v_dual_mov_b32 v116, v170 :: v_dual_mov_b32 v117, v171
	;; [unrolled: 1-line block ×7, first 2 shown]
	s_wait_loadcnt 0x0
	v_fma_f64 v[27:28], v[20:21], v[35:36], v[27:28]
	v_fma_f64 v[29:30], v[22:23], v[35:36], v[29:30]
	;; [unrolled: 1-line block ×10, first 2 shown]
	v_dual_mov_b32 v96, v154 :: v_dual_mov_b32 v97, v155
	v_fma_f64 v[35:36], v[90:91], v[104:105], v[35:36]
	scratch_load_b128 v[102:105], off, off offset:776 th:TH_LOAD_LU ; 16-byte Folded Reload
	s_wait_loadcnt 0x0
	v_fma_f64 v[16:17], v[132:133], v[102:103], v[16:17]
	v_fma_f64 v[21:22], v[134:135], v[102:103], v[130:131]
	;; [unrolled: 1-line block ×16, first 2 shown]
	scratch_load_b128 v[102:105], off, off offset:760 th:TH_LOAD_LU ; 16-byte Folded Reload
	s_wait_loadcnt 0x0
	v_fma_f64 v[35:36], v[132:133], v[102:103], v[35:36]
	v_fma_f64 v[37:38], v[134:135], v[102:103], v[37:38]
	;; [unrolled: 1-line block ×8, first 2 shown]
	scratch_load_b64 v[134:135], off, off offset:856 ; 8-byte Folded Reload
	v_dual_mov_b32 v133, v52 :: v_dual_mov_b32 v132, v51
	v_dual_mov_b32 v131, v50 :: v_dual_mov_b32 v130, v49
	;; [unrolled: 1-line block ×6, first 2 shown]
	v_fma_f64 v[35:36], v[164:165], v[104:105], v[35:36]
	v_fma_f64 v[37:38], v[166:167], v[104:105], v[37:38]
	;; [unrolled: 1-line block ×4, first 2 shown]
	s_clause 0x3
	scratch_load_b64 v[162:163], off, off offset:936
	scratch_load_b64 v[160:161], off, off offset:928
	;; [unrolled: 1-line block ×4, first 2 shown]
	v_fma_f64 v[43:44], v[156:157], v[104:105], v[43:44]
	v_fma_f64 v[47:48], v[158:159], v[104:105], v[47:48]
	;; [unrolled: 1-line block ×4, first 2 shown]
	s_clause 0x1
	scratch_load_b128 v[102:105], off, off offset:744 th:TH_LOAD_LU
	scratch_load_b64 v[106:107], off, off offset:904
	v_dual_mov_b32 v159, v111 :: v_dual_mov_b32 v158, v110
	v_dual_mov_b32 v157, v86 :: v_dual_mov_b32 v156, v85
	scratch_load_b128 v[63:66], off, off    ; 16-byte Folded Reload
	s_wait_loadcnt 0x2
	v_fma_f64 v[16:17], v[126:127], v[102:103], v[16:17]
	v_fma_f64 v[21:22], v[128:129], v[102:103], v[21:22]
	;; [unrolled: 1-line block ×16, first 2 shown]
	scratch_load_b128 v[102:105], off, off offset:176 th:TH_LOAD_LU ; 16-byte Folded Reload
	s_wait_loadcnt 0x0
	v_fma_f64 v[35:36], v[126:127], v[102:103], v[35:36]
	v_fma_f64 v[37:38], v[128:129], v[102:103], v[37:38]
	;; [unrolled: 1-line block ×8, first 2 shown]
	v_dual_mov_b32 v177, v46 :: v_dual_mov_b32 v176, v45
	v_fma_f64 v[35:36], v[118:119], v[104:105], v[35:36]
	scratch_load_b64 v[118:119], off, off offset:824 ; 8-byte Folded Reload
	v_fma_f64 v[37:38], v[120:121], v[104:105], v[37:38]
	v_fma_f64 v[39:40], v[188:189], v[104:105], v[39:40]
	;; [unrolled: 1-line block ×7, first 2 shown]
	scratch_load_b128 v[102:105], off, off offset:368 th:TH_LOAD_LU ; 16-byte Folded Reload
	v_dual_mov_b32 v185, v78 :: v_dual_mov_b32 v184, v77
	s_wait_loadcnt 0x0
	v_fma_f64 v[21:22], v[14:15], v[102:103], v[21:22]
	v_fma_f64 v[23:24], v[68:69], v[102:103], v[23:24]
	;; [unrolled: 1-line block ×10, first 2 shown]
	s_clause 0x1
	scratch_load_b128 v[20:23], off, off
	scratch_load_b128 v[63:66], off, off offset:616 th:TH_LOAD_LU
	v_fma_f64 v[178:179], v[79:80], v[104:105], v[16:17]
	v_fma_f64 v[77:78], v[180:181], v[104:105], v[27:28]
	;; [unrolled: 1-line block ×5, first 2 shown]
	s_clause 0x5
	scratch_load_b64 v[146:147], off, off offset:912
	scratch_load_b64 v[172:173], off, off offset:808
	;; [unrolled: 1-line block ×6, first 2 shown]
	s_wait_loadcnt 0x7
	v_fma_f64 v[108:109], v[22:23], v[104:105], v[25:26]
	s_wait_loadcnt 0x6
	v_fma_f64 v[16:17], v[12:13], v[63:64], v[35:36]
	v_fma_f64 v[21:22], v[14:15], v[63:64], v[37:38]
	s_clause 0x7
	scratch_load_b64 v[12:13], off, off offset:976
	scratch_load_b64 v[120:121], off, off offset:968
	;; [unrolled: 1-line block ×7, first 2 shown]
	scratch_load_b128 v[35:38], off, off
	v_fma_f64 v[33:34], v[132:133], v[63:64], v[57:58]
	v_fma_f64 v[25:26], v[70:71], v[63:64], v[41:42]
	;; [unrolled: 1-line block ×3, first 2 shown]
	s_clause 0x3
	scratch_load_b64 v[67:68], off, off offset:840
	scratch_load_b64 v[69:70], off, off offset:848
	;; [unrolled: 1-line block ×4, first 2 shown]
	v_fma_f64 v[27:28], v[49:50], v[63:64], v[43:44]
	v_fma_f64 v[29:30], v[51:52], v[63:64], v[47:48]
	;; [unrolled: 1-line block ×5, first 2 shown]
	v_dual_mov_b32 v82, v56 :: v_dual_mov_b32 v81, v55
	v_fma_f64 v[16:17], v[10:11], v[65:66], v[33:34]
	v_fma_f64 v[63:64], v[4:5], v[65:66], v[27:28]
	;; [unrolled: 1-line block ×4, first 2 shown]
	s_wait_loadcnt 0xc
	v_dual_mov_b32 v27, v110 :: v_dual_mov_b32 v28, v111
	scratch_store_b64 off, v[16:17], off offset:176 ; 8-byte Folded Spill
	s_wait_loadcnt 0xb
	v_dual_mov_b32 v22, v13 :: v_dual_mov_b32 v21, v12
	s_wait_loadcnt 0x4
	v_fma_f64 v[71:72], v[37:38], v[65:66], v[25:26]
	s_clause 0x2
	scratch_load_b64 v[25:26], off, off offset:544
	scratch_load_b64 v[18:19], off, off offset:496
	;; [unrolled: 1-line block ×3, first 2 shown]
	v_fma_f64 v[0:1], v[35:36], v[65:66], v[23:24]
	v_dual_mov_b32 v23, v94 :: v_dual_mov_b32 v24, v95
	s_wait_loadcnt 0x5
	v_dual_mov_b32 v31, v69 :: v_dual_mov_b32 v32, v70
	s_wait_loadcnt 0x3
	v_dual_mov_b32 v29, v41 :: v_dual_mov_b32 v30, v42
	v_dual_mov_b32 v33, v67 :: v_dual_mov_b32 v34, v68
	v_dual_mov_b32 v35, v39 :: v_dual_mov_b32 v36, v40
	s_wait_alu 0xfffe
	s_cbranch_vccnz .LBB0_30
; %bb.29:                               ;   in Loop: Header=BB0_21 Depth=1
	s_clause 0x2
	scratch_load_b64 v[33:34], off, off offset:560
	scratch_load_b64 v[37:38], off, off offset:1232
	;; [unrolled: 1-line block ×3, first 2 shown]
	s_wait_loadcnt 0x2
	v_fma_f64 v[21:22], v[33:34], v[94:95], 0
	v_fma_f64 v[16:17], v[12:13], v[33:34], 0
	;; [unrolled: 1-line block ×6, first 2 shown]
	s_wait_loadcnt 0x0
	v_fma_f64 v[21:22], v[35:36], v[14:15], v[21:22]
	v_dual_mov_b32 v15, v7 :: v_dual_mov_b32 v14, v6
	v_dual_mov_b32 v13, v5 :: v_dual_mov_b32 v12, v4
	scratch_load_b64 v[4:5], off, off offset:544 ; 8-byte Folded Reload
	v_fma_f64 v[31:32], v[35:36], v[37:38], v[31:32]
	scratch_load_b64 v[37:38], off, off offset:1160 ; 8-byte Folded Reload
	v_fma_f64 v[16:17], v[2:3], v[35:36], v[16:17]
	v_fma_f64 v[25:26], v[35:36], v[106:107], v[25:26]
	;; [unrolled: 1-line block ×4, first 2 shown]
	s_wait_loadcnt 0x1
	v_fma_f64 v[23:24], v[33:34], v[4:5], 0
	v_fma_f64 v[33:34], v[33:34], v[39:40], 0
	v_dual_mov_b32 v4, v12 :: v_dual_mov_b32 v5, v13
	v_dual_mov_b32 v6, v14 :: v_dual_mov_b32 v7, v15
	scratch_load_b64 v[12:13], off, off offset:1288 ; 8-byte Folded Reload
	v_fma_f64 v[23:24], v[35:36], v[142:143], v[23:24]
	v_fma_f64 v[33:34], v[35:36], v[118:119], v[33:34]
	scratch_load_b64 v[35:36], off, off offset:576 ; 8-byte Folded Reload
	s_wait_loadcnt 0x0
	v_fma_f64 v[25:26], v[35:36], v[12:13], v[25:26]
	scratch_load_b64 v[12:13], off, off offset:1008 ; 8-byte Folded Reload
	v_fma_f64 v[16:17], v[100:101], v[35:36], v[16:17]
	v_fma_f64 v[21:22], v[35:36], v[102:103], v[21:22]
	;; [unrolled: 1-line block ×6, first 2 shown]
	s_wait_loadcnt 0x0
	v_fma_f64 v[33:34], v[35:36], v[12:13], v[33:34]
	scratch_load_b64 v[35:36], off, off offset:568 ; 8-byte Folded Reload
	s_wait_loadcnt 0x0
	v_fma_f64 v[29:30], v[35:36], v[37:38], v[29:30]
	scratch_load_b64 v[37:38], off, off offset:1016 ; 8-byte Folded Reload
	v_fma_f64 v[16:17], v[124:125], v[35:36], v[16:17]
	v_fma_f64 v[21:22], v[35:36], v[120:121], v[21:22]
	;; [unrolled: 1-line block ×6, first 2 shown]
	s_wait_loadcnt 0x0
	v_fma_f64 v[31:32], v[35:36], v[37:38], v[31:32]
	scratch_load_b64 v[35:36], off, off offset:592 ; 8-byte Folded Reload
	s_wait_loadcnt 0x0
	v_fma_f64 v[16:17], v[176:177], v[35:36], v[16:17]
	v_fma_f64 v[21:22], v[35:36], v[156:157], v[21:22]
	v_fma_f64 v[23:24], v[35:36], v[73:74], v[23:24]
	v_fma_f64 v[25:26], v[35:36], v[43:44], v[25:26]
	v_fma_f64 v[27:28], v[35:36], v[18:19], v[27:28]
	v_fma_f64 v[29:30], v[35:36], v[170:171], v[29:30]
	v_fma_f64 v[31:32], v[35:36], v[144:145], v[31:32]
	v_fma_f64 v[33:34], v[35:36], v[96:97], v[33:34]
	s_clause 0x3
	scratch_load_b64 v[35:36], off, off offset:584
	scratch_load_b64 v[37:38], off, off offset:1328
	;; [unrolled: 1-line block ×4, first 2 shown]
	s_wait_loadcnt 0x3
	v_fma_f64 v[21:22], v[35:36], v[158:159], v[21:22]
	s_wait_loadcnt 0x2
	v_fma_f64 v[16:17], v[37:38], v[35:36], v[16:17]
	scratch_load_b64 v[37:38], off, off offset:1296 ; 8-byte Folded Reload
	v_fma_f64 v[23:24], v[35:36], v[83:84], v[23:24]
	v_fma_f64 v[25:26], v[35:36], v[81:82], v[25:26]
	v_fma_f64 v[29:30], v[35:36], v[98:99], v[29:30]
	v_fma_f64 v[31:32], v[35:36], v[87:88], v[31:32]
	v_fma_f64 v[33:34], v[35:36], v[184:185], v[33:34]
	s_wait_loadcnt 0x2
	v_fma_f64 v[16:17], v[178:179], v[53:54], v[16:17]
	v_fma_f64 v[39:40], v[53:54], v[108:109], v[25:26]
	v_fma_f64 v[43:44], v[53:54], v[90:91], v[29:30]
	v_fma_f64 v[47:48], v[53:54], v[92:93], v[31:32]
	s_wait_loadcnt 0x1
	s_delay_alu instid0(VALU_DEP_2)
	v_fma_f64 v[31:32], v[57:58], v[55:56], v[43:44]
	s_wait_loadcnt 0x0
	v_fma_f64 v[27:28], v[35:36], v[37:38], v[27:28]
	v_fma_f64 v[35:36], v[53:54], v[174:175], v[21:22]
	;; [unrolled: 1-line block ×3, first 2 shown]
	scratch_load_b64 v[16:17], off, off offset:176 ; 8-byte Folded Reload
	v_fma_f64 v[37:38], v[53:54], v[148:149], v[23:24]
	v_fma_f64 v[41:42], v[53:54], v[77:78], v[27:28]
	;; [unrolled: 1-line block ×8, first 2 shown]
	s_wait_loadcnt 0x0
	v_fma_f64 v[35:36], v[57:58], v[16:17], v[53:54]
.LBB0_30:                               ;   in Loop: Header=BB0_21 Depth=1
	s_clause 0x1c
	scratch_store_b64 off, v[45:46], off offset:1656
	scratch_store_b64 off, v[178:179], off offset:1544
	;; [unrolled: 1-line block ×29, first 2 shown]
	s_wait_loadcnt 0x1
	s_clause 0xb
	scratch_load_b64 v[18:19], off, off offset:1120 th:TH_LOAD_LU
	scratch_load_b128 v[178:181], off, off offset:64
	scratch_load_b128 v[146:149], off, off offset:96
	;; [unrolled: 1-line block ×5, first 2 shown]
	scratch_load_b128 v[79:82], off, off
	scratch_load_b128 v[160:163], off, off offset:256
	scratch_load_b128 v[142:145], off, off offset:288
	;; [unrolled: 1-line block ×5, first 2 shown]
	v_dual_mov_b32 v12, v150 :: v_dual_mov_b32 v13, v151
	v_dual_mov_b32 v108, v164 :: v_dual_mov_b32 v109, v165
	;; [unrolled: 1-line block ×4, first 2 shown]
	scratch_load_b128 v[65:68], off, off offset:464 ; 16-byte Folded Reload
	v_dual_mov_b32 v83, v114 :: v_dual_mov_b32 v84, v115
	v_dual_mov_b32 v96, v116 :: v_dual_mov_b32 v97, v117
	;; [unrolled: 1-line block ×5, first 2 shown]
	scratch_load_b128 v[122:125], off, off offset:352 ; 16-byte Folded Reload
	s_wait_loadcnt 0xd
	v_div_scale_f64 v[16:17], null, v[18:19], v[18:19], 1.0
	s_wait_loadcnt 0xc
	v_dual_mov_b32 v47, v178 :: v_dual_mov_b32 v48, v179
	s_wait_loadcnt 0x9
	v_dual_mov_b32 v71, v90 :: v_dual_mov_b32 v72, v91
	;; [unrolled: 2-line block ×5, first 2 shown]
	v_dual_mov_b32 v45, v122 :: v_dual_mov_b32 v46, v123
	scratch_store_b64 off, v[0:1], off offset:1304 ; 8-byte Folded Spill
	v_rcp_f64_e32 v[37:38], v[16:17]
	v_dual_mov_b32 v0, v184 :: v_dual_mov_b32 v1, v185
	scratch_store_b64 off, v[0:1], off offset:1336 ; 8-byte Folded Spill
	v_fma_f64 v[39:40], -v[16:17], v[37:38], 1.0
	s_delay_alu instid0(VALU_DEP_1) | instskip(NEXT) | instid1(VALU_DEP_1)
	v_fma_f64 v[37:38], v[37:38], v[39:40], v[37:38]
	v_fma_f64 v[39:40], -v[16:17], v[37:38], 1.0
	s_delay_alu instid0(VALU_DEP_1) | instskip(SKIP_1) | instid1(VALU_DEP_1)
	v_fma_f64 v[37:38], v[37:38], v[39:40], v[37:38]
	v_div_scale_f64 v[39:40], vcc_lo, 1.0, v[18:19], 1.0
	v_mul_f64_e32 v[41:42], v[39:40], v[37:38]
	s_delay_alu instid0(VALU_DEP_1) | instskip(SKIP_1) | instid1(VALU_DEP_1)
	v_fma_f64 v[16:17], -v[16:17], v[41:42], v[39:40]
	s_wait_alu 0xfffd
	v_div_fmas_f64 v[16:17], v[16:17], v[37:38], v[41:42]
	v_dual_mov_b32 v37, v138 :: v_dual_mov_b32 v38, v139
	s_and_not1_b32 vcc_lo, exec_lo, s30
	s_delay_alu instid0(VALU_DEP_2) | instskip(NEXT) | instid1(VALU_DEP_1)
	v_div_fixup_f64 v[16:17], v[16:17], v[18:19], 1.0
	v_mul_f64_e32 v[188:189], v[16:17], v[21:22]
	v_mul_f64_e32 v[140:141], v[16:17], v[23:24]
	scratch_load_b128 v[21:24], off, off offset:416 ; 16-byte Folded Reload
	v_mul_f64_e32 v[106:107], v[16:17], v[25:26]
	v_mul_f64_e32 v[104:105], v[16:17], v[27:28]
	;; [unrolled: 1-line block ×6, first 2 shown]
	v_dual_mov_b32 v16, v180 :: v_dual_mov_b32 v17, v181
	s_clause 0x2
	scratch_load_b128 v[29:32], off, off offset:448
	scratch_load_b128 v[25:28], off, off offset:336
	;; [unrolled: 1-line block ×3, first 2 shown]
	v_dual_mov_b32 v74, v68 :: v_dual_mov_b32 v73, v67
	scratch_store_b64 off, v[16:17], off offset:1224 ; 8-byte Folded Spill
	v_dual_mov_b32 v16, v118 :: v_dual_mov_b32 v17, v119
	scratch_store_b64 off, v[16:17], off offset:1168 ; 8-byte Folded Spill
	;; [unrolled: 2-line block ×4, first 2 shown]
	v_dual_mov_b32 v16, v100 :: v_dual_mov_b32 v17, v101
	v_dual_mov_b32 v168, v188 :: v_dual_mov_b32 v169, v189
	v_dual_mov_b32 v77, v140 :: v_dual_mov_b32 v78, v141
	scratch_store_b64 off, v[16:17], off offset:616 ; 8-byte Folded Spill
	v_dual_mov_b32 v16, v92 :: v_dual_mov_b32 v17, v93
	v_dual_mov_b32 v53, v106 :: v_dual_mov_b32 v54, v107
	v_dual_mov_b32 v191, v105 :: v_dual_mov_b32 v190, v104
	scratch_store_b64 off, v[16:17], off offset:1248 ; 8-byte Folded Spill
	v_dual_mov_b32 v16, v59 :: v_dual_mov_b32 v17, v60
	v_dual_mov_b32 v69, v94 :: v_dual_mov_b32 v70, v95
	v_dual_mov_b32 v135, v89 :: v_dual_mov_b32 v134, v88
	scratch_store_b64 off, v[16:17], off offset:1200 ; 8-byte Folded Spill
	v_dual_mov_b32 v16, v61 :: v_dual_mov_b32 v17, v62
	v_dual_mov_b32 v113, v58 :: v_dual_mov_b32 v112, v57
	scratch_store_b64 off, v[16:17], off offset:1120 ; 8-byte Folded Spill
	v_dual_mov_b32 v16, v150 :: v_dual_mov_b32 v17, v151
	v_dual_mov_b32 v150, v164 :: v_dual_mov_b32 v151, v165
	scratch_store_b64 off, v[16:17], off offset:1024 ; 8-byte Folded Spill
	;; [unrolled: 3-line block ×3, first 2 shown]
	v_dual_mov_b32 v16, v160 :: v_dual_mov_b32 v17, v161
	scratch_store_b64 off, v[16:17], off offset:368 ; 8-byte Folded Spill
	v_dual_mov_b32 v16, v166 :: v_dual_mov_b32 v17, v167
	scratch_load_b128 v[164:167], off, off offset:320 ; 16-byte Folded Reload
	scratch_store_b64 off, v[16:17], off offset:1264 ; 8-byte Folded Spill
	v_dual_mov_b32 v16, v146 :: v_dual_mov_b32 v17, v147
	scratch_store_b64 off, v[16:17], off offset:1216 ; 8-byte Folded Spill
	v_dual_mov_b32 v16, v148 :: v_dual_mov_b32 v17, v149
	scratch_store_b64 off, v[16:17], off offset:1144 ; 8-byte Folded Spill
	v_dual_mov_b32 v16, v142 :: v_dual_mov_b32 v17, v143
	scratch_store_b64 off, v[16:17], off offset:1056 ; 8-byte Folded Spill
	v_dual_mov_b32 v16, v144 :: v_dual_mov_b32 v17, v145
	scratch_store_b64 off, v[16:17], off offset:760 ; 8-byte Folded Spill
	v_dual_mov_b32 v16, v136 :: v_dual_mov_b32 v17, v137
	s_wait_loadcnt 0x3
	v_dual_mov_b32 v0, v29 :: v_dual_mov_b32 v1, v30
	v_dual_mov_b32 v64, v32 :: v_dual_mov_b32 v63, v31
	s_wait_loadcnt 0x1
	v_dual_mov_b32 v18, v33 :: v_dual_mov_b32 v19, v34
	v_dual_mov_b32 v159, v36 :: v_dual_mov_b32 v158, v35
	s_clause 0x1
	scratch_store_b64 off, v[16:17], off offset:528
	scratch_store_b64 off, v[0:1], off offset:1312
	v_dual_mov_b32 v16, v21 :: v_dual_mov_b32 v17, v22
	v_dual_mov_b32 v0, v79 :: v_dual_mov_b32 v1, v80
	;; [unrolled: 1-line block ×3, first 2 shown]
	scratch_store_b64 off, v[16:17], off offset:1240 ; 8-byte Folded Spill
	v_dual_mov_b32 v16, v23 :: v_dual_mov_b32 v17, v24
	scratch_store_b64 off, v[0:1], off offset:1320 ; 8-byte Folded Spill
	v_dual_mov_b32 v0, v10 :: v_dual_mov_b32 v1, v11
	;; [unrolled: 2-line block ×4, first 2 shown]
	scratch_store_b64 off, v[16:17], off offset:792 ; 8-byte Folded Spill
	s_wait_loadcnt 0x0
	v_dual_mov_b32 v16, v164 :: v_dual_mov_b32 v17, v165
	v_dual_mov_b32 v41, v166 :: v_dual_mov_b32 v42, v167
	scratch_store_b64 off, v[16:17], off offset:1040 ; 8-byte Folded Spill
	v_dual_mov_b32 v16, v186 :: v_dual_mov_b32 v17, v187
	scratch_store_b64 off, v[16:17], off offset:1280 ; 8-byte Folded Spill
	;; [unrolled: 2-line block ×11, first 2 shown]
	v_dual_mov_b32 v16, v75 :: v_dual_mov_b32 v17, v76
	s_wait_alu 0xfffe
	s_cbranch_vccnz .LBB0_32
; %bb.31:                               ;   in Loop: Header=BB0_21 Depth=1
	s_clause 0x9
	scratch_load_b64 v[81:82], off, off offset:560
	scratch_load_b64 v[79:80], off, off offset:552
	;; [unrolled: 1-line block ×3, first 2 shown]
	scratch_load_b128 v[0:3], off, off offset:48
	scratch_load_b64 v[41:42], off, off offset:592
	scratch_load_b128 v[37:40], off, off offset:64
	scratch_load_b64 v[152:153], off, off offset:584
	scratch_load_b64 v[180:181], off, off offset:568
	;; [unrolled: 1-line block ×4, first 2 shown]
	s_wait_loadcnt 0x9
	v_mul_f64_e32 v[168:169], v[188:189], v[81:82]
	s_wait_loadcnt 0x8
	v_fma_f64 v[102:103], -v[188:189], v[79:80], v[178:179]
	s_wait_loadcnt 0x6
	v_fma_f64 v[71:72], -v[188:189], v[182:183], v[0:1]
	;; [unrolled: 2-line block ×4, first 2 shown]
	scratch_load_b128 v[37:40], off, off offset:48 ; 16-byte Folded Reload
	s_wait_loadcnt 0x4
	v_fma_f64 v[2:3], -v[140:141], v[152:153], v[124:125]
	s_wait_loadcnt 0x2
	v_fma_f64 v[18:19], -v[188:189], v[47:48], v[65:66]
	v_fma_f64 v[73:74], -v[140:141], v[47:48], v[67:68]
	v_fma_f64 v[63:64], -v[104:105], v[47:48], v[31:32]
	s_wait_loadcnt 0x1
	v_fma_f64 v[0:1], -v[188:189], v[43:44], v[33:34]
	v_fma_f64 v[85:86], -v[188:189], v[41:42], v[126:127]
	;; [unrolled: 1-line block ×3, first 2 shown]
	v_mul_f64_e32 v[77:78], v[140:141], v[81:82]
	v_fma_f64 v[158:159], -v[140:141], v[43:44], v[35:36]
	v_mul_f64_e32 v[53:54], v[106:107], v[81:82]
	v_mul_f64_e32 v[190:191], v[104:105], v[81:82]
	;; [unrolled: 1-line block ×4, first 2 shown]
	v_fma_f64 v[83:84], -v[75:76], v[79:80], v[114:115]
	v_mul_f64_e32 v[112:113], v[57:58], v[81:82]
	v_fma_f64 v[96:97], -v[57:58], v[79:80], v[116:117]
	v_fma_f64 v[55:56], -v[57:58], v[182:183], v[162:163]
	scratch_store_b64 off, v[16:17], off offset:1224 ; 8-byte Folded Spill
	s_wait_loadcnt 0x0
	v_fma_f64 v[16:17], -v[140:141], v[182:183], v[39:40]
	scratch_load_b128 v[37:40], off, off    ; 16-byte Folded Reload
	v_fma_f64 v[150:151], -v[188:189], v[180:181], v[108:109]
	scratch_store_b64 off, v[16:17], off offset:1248 ; 8-byte Folded Spill
	v_fma_f64 v[16:17], -v[140:141], v[180:181], v[110:111]
	scratch_store_b64 off, v[16:17], off offset:1264 ; 8-byte Folded Spill
	;; [unrolled: 2-line block ×8, first 2 shown]
	v_fma_f64 v[16:17], -v[104:105], v[180:181], v[148:149]
	s_wait_loadcnt 0x0
	v_fma_f64 v[156:157], -v[104:105], v[43:44], v[39:40]
	v_fma_f64 v[39:40], -v[57:58], v[152:153], v[27:28]
	scratch_store_b64 off, v[16:17], off offset:1144 ; 8-byte Folded Spill
	v_fma_f64 v[16:17], -v[104:105], v[41:42], v[23:24]
	scratch_store_b64 off, v[16:17], off offset:1184 ; 8-byte Folded Spill
	;; [unrolled: 2-line block ×8, first 2 shown]
	v_fma_f64 v[2:3], -v[106:107], v[43:44], v[37:38]
	v_fma_f64 v[37:38], -v[75:76], v[182:183], v[160:161]
	scratch_store_b64 off, v[16:17], off offset:1056 ; 8-byte Folded Spill
	v_fma_f64 v[16:17], -v[94:95], v[41:42], v[170:171]
	scratch_store_b64 off, v[37:38], off offset:368 ; 8-byte Folded Spill
	;; [unrolled: 2-line block ×14, first 2 shown]
	v_fma_f64 v[16:17], -v[88:89], v[180:181], v[144:145]
	scratch_load_b128 v[178:181], off, off offset:64 ; 16-byte Folded Reload
	scratch_store_b64 off, v[16:17], off offset:760 ; 8-byte Folded Spill
	v_fma_f64 v[16:17], -v[88:89], v[41:42], v[172:173]
	v_fma_f64 v[41:42], -v[57:58], v[41:42], v[166:167]
	scratch_store_b64 off, v[16:17], off offset:792 ; 8-byte Folded Spill
	v_fma_f64 v[16:17], -v[88:89], v[152:153], v[176:177]
	v_dual_mov_b32 v153, v19 :: v_dual_mov_b32 v152, v18
	v_dual_mov_b32 v19, v1 :: v_dual_mov_b32 v18, v0
	v_fma_f64 v[0:1], -v[57:58], v[43:44], v[10:11]
	scratch_store_b64 off, v[16:17], off offset:1152 ; 8-byte Folded Spill
	v_fma_f64 v[16:17], -v[88:89], v[47:48], v[51:52]
	v_dual_mov_b32 v47, v102 :: v_dual_mov_b32 v48, v103
	v_dual_mov_b32 v103, v91 :: v_dual_mov_b32 v102, v90
	scratch_load_b128 v[90:93], off, off offset:48 ; 16-byte Folded Reload
	scratch_store_b64 off, v[16:17], off offset:1176 ; 8-byte Folded Spill
	v_fma_f64 v[16:17], -v[88:89], v[43:44], v[6:7]
	scratch_store_b64 off, v[16:17], off offset:1192 ; 8-byte Folded Spill
	v_mul_f64_e32 v[16:17], v[75:76], v[81:82]
.LBB0_32:                               ;   in Loop: Header=BB0_21 Depth=1
	v_dual_mov_b32 v139, v117 :: v_dual_mov_b32 v138, v116
	s_clause 0x6
	scratch_store_b64 off, v[83:84], off offset:1712
	scratch_store_b64 off, v[96:97], off offset:1704
	;; [unrolled: 1-line block ×7, first 2 shown]
	v_dual_mov_b32 v137, v115 :: v_dual_mov_b32 v136, v114
	s_wait_loadcnt 0x0
	v_dual_mov_b32 v117, v93 :: v_dual_mov_b32 v116, v92
	v_dual_mov_b32 v82, v36 :: v_dual_mov_b32 v81, v35
	;; [unrolled: 1-line block ×3, first 2 shown]
	scratch_load_b128 v[90:93], off, off offset:160 ; 16-byte Folded Reload
	v_dual_mov_b32 v80, v34 :: v_dual_mov_b32 v79, v33
	v_dual_mov_b32 v36, v11 :: v_dual_mov_b32 v35, v10
	v_dual_mov_b32 v34, v9 :: v_dual_mov_b32 v33, v8
	v_dual_mov_b32 v8, v178 :: v_dual_mov_b32 v9, v179
	v_dual_mov_b32 v41, v170 :: v_dual_mov_b32 v42, v171
	v_dual_mov_b32 v84, v40 :: v_dual_mov_b32 v83, v39
	v_dual_mov_b32 v37, v174 :: v_dual_mov_b32 v38, v175
	v_dual_mov_b32 v10, v180 :: v_dual_mov_b32 v11, v181
	v_dual_mov_b32 v43, v172 :: v_dual_mov_b32 v44, v173
	v_dual_mov_b32 v39, v176 :: v_dual_mov_b32 v40, v177
	v_dual_mov_b32 v55, v168 :: v_dual_mov_b32 v56, v169
	s_clause 0x3
	scratch_load_b128 v[168:171], off, off offset:192 th:TH_LOAD_LU
	scratch_load_b128 v[172:175], off, off offset:208 th:TH_LOAD_LU
	;; [unrolled: 1-line block ×4, first 2 shown]
	v_dual_mov_b32 v0, v4 :: v_dual_mov_b32 v1, v5
	v_dual_mov_b32 v2, v6 :: v_dual_mov_b32 v3, v7
	s_mov_b32 m0, s31
	s_add_co_i32 s29, s29, 1
	s_wait_alu 0xfffe
	s_cmp_eq_u32 s28, s29
	s_wait_loadcnt 0x3
	v_fma_f64 v[96:97], v[90:91], v[168:169], 0
	s_delay_alu instid0(VALU_DEP_1) | instskip(SKIP_1) | instid1(VALU_DEP_1)
	v_fma_f64 v[96:97], v[8:9], v[170:171], v[96:97]
	s_wait_loadcnt 0x2
	v_fma_f64 v[96:97], v[114:115], v[172:173], v[96:97]
	v_fma_f64 v[114:115], v[168:169], v[92:93], 0
	s_delay_alu instid0(VALU_DEP_2) | instskip(NEXT) | instid1(VALU_DEP_2)
	v_fma_f64 v[96:97], v[108:109], v[174:175], v[96:97]
	v_fma_f64 v[114:115], v[170:171], v[10:11], v[114:115]
	scratch_load_b128 v[8:11], off, off     ; 16-byte Folded Reload
	s_wait_loadcnt 0x2
	v_fma_f64 v[96:97], v[126:127], v[176:177], v[96:97]
	v_fma_f64 v[114:115], v[172:173], v[116:117], v[114:115]
	s_delay_alu instid0(VALU_DEP_2) | instskip(NEXT) | instid1(VALU_DEP_2)
	v_fma_f64 v[96:97], v[122:123], v[178:179], v[96:97]
	v_fma_f64 v[114:115], v[174:175], v[110:111], v[114:115]
	v_dual_mov_b32 v111, v52 :: v_dual_mov_b32 v110, v51
	v_dual_mov_b32 v109, v50 :: v_dual_mov_b32 v108, v49
	s_wait_loadcnt 0x1
	s_delay_alu instid0(VALU_DEP_4) | instskip(NEXT) | instid1(VALU_DEP_4)
	v_fma_f64 v[96:97], v[65:66], v[180:181], v[96:97]
	v_fma_f64 v[114:115], v[176:177], v[128:129], v[114:115]
	s_delay_alu instid0(VALU_DEP_2) | instskip(NEXT) | instid1(VALU_DEP_2)
	v_fma_f64 v[96:97], v[79:80], v[182:183], v[96:97]
	v_fma_f64 v[114:115], v[178:179], v[124:125], v[114:115]
	v_dual_mov_b32 v80, v72 :: v_dual_mov_b32 v79, v71
	s_delay_alu instid0(VALU_DEP_2)
	v_fma_f64 v[114:115], v[180:181], v[67:68], v[114:115]
	scratch_load_b128 v[65:68], off, off offset:128 ; 16-byte Folded Reload
	v_fma_f64 v[114:115], v[182:183], v[81:82], v[114:115]
	v_dual_mov_b32 v81, v102 :: v_dual_mov_b32 v82, v103
	s_wait_loadcnt 0x0
	v_fma_f64 v[116:117], v[168:169], v[65:66], 0
	s_delay_alu instid0(VALU_DEP_1) | instskip(SKIP_1) | instid1(VALU_DEP_2)
	v_fma_f64 v[116:117], v[170:171], v[118:119], v[116:117]
	v_fma_f64 v[118:119], v[168:169], v[67:68], 0
	;; [unrolled: 1-line block ×3, first 2 shown]
	s_delay_alu instid0(VALU_DEP_2) | instskip(NEXT) | instid1(VALU_DEP_2)
	v_fma_f64 v[118:119], v[170:171], v[120:121], v[118:119]
	v_fma_f64 v[116:117], v[174:175], v[146:147], v[116:117]
	s_delay_alu instid0(VALU_DEP_2) | instskip(SKIP_1) | instid1(VALU_DEP_3)
	v_fma_f64 v[118:119], v[172:173], v[61:62], v[118:119]
	v_dual_mov_b32 v62, v46 :: v_dual_mov_b32 v61, v45
	v_fma_f64 v[116:117], v[176:177], v[21:22], v[116:117]
	s_delay_alu instid0(VALU_DEP_3) | instskip(NEXT) | instid1(VALU_DEP_2)
	v_fma_f64 v[118:119], v[174:175], v[148:149], v[118:119]
	v_fma_f64 v[116:117], v[178:179], v[184:185], v[116:117]
	s_delay_alu instid0(VALU_DEP_2) | instskip(NEXT) | instid1(VALU_DEP_2)
	v_fma_f64 v[118:119], v[176:177], v[23:24], v[118:119]
	v_fma_f64 v[116:117], v[180:181], v[29:30], v[116:117]
	s_delay_alu instid0(VALU_DEP_2) | instskip(SKIP_2) | instid1(VALU_DEP_4)
	v_fma_f64 v[118:119], v[178:179], v[186:187], v[118:119]
	v_dual_mov_b32 v187, v44 :: v_dual_mov_b32 v186, v43
	v_dual_mov_b32 v185, v42 :: v_dual_mov_b32 v184, v41
	v_fma_f64 v[116:117], v[182:183], v[8:9], v[116:117]
	scratch_load_b128 v[6:9], off, off offset:144 ; 16-byte Folded Reload
	v_fma_f64 v[118:119], v[180:181], v[31:32], v[118:119]
	s_delay_alu instid0(VALU_DEP_1) | instskip(SKIP_3) | instid1(VALU_DEP_2)
	v_fma_f64 v[118:119], v[182:183], v[10:11], v[118:119]
	s_wait_loadcnt 0x0
	v_fma_f64 v[122:123], v[168:169], v[8:9], 0
	v_fma_f64 v[120:121], v[168:169], v[6:7], 0
	;; [unrolled: 1-line block ×3, first 2 shown]
	s_delay_alu instid0(VALU_DEP_2)
	v_fma_f64 v[120:121], v[170:171], v[98:99], v[120:121]
	v_add_f64_e64 v[98:99], v[92:93], -v[77:78]
	v_dual_mov_b32 v101, v84 :: v_dual_mov_b32 v100, v83
	v_dual_mov_b32 v77, v152 :: v_dual_mov_b32 v78, v153
	v_fma_f64 v[122:123], v[172:173], v[14:15], v[122:123]
	v_fma_f64 v[120:121], v[172:173], v[12:13], v[120:121]
	scratch_load_b128 v[10:13], off, off offset:112 ; 16-byte Folded Reload
	v_fma_f64 v[122:123], v[174:175], v[144:145], v[122:123]
	v_fma_f64 v[120:121], v[174:175], v[142:143], v[120:121]
	s_delay_alu instid0(VALU_DEP_2) | instskip(NEXT) | instid1(VALU_DEP_2)
	v_fma_f64 v[122:123], v[176:177], v[186:187], v[122:123]
	v_fma_f64 v[120:121], v[176:177], v[184:185], v[120:121]
	s_delay_alu instid0(VALU_DEP_2) | instskip(NEXT) | instid1(VALU_DEP_2)
	v_fma_f64 v[122:123], v[178:179], v[39:40], v[122:123]
	v_fma_f64 v[120:121], v[178:179], v[37:38], v[120:121]
	v_add_f64_e64 v[37:38], v[90:91], -v[55:56]
	v_dual_mov_b32 v39, v150 :: v_dual_mov_b32 v40, v151
	s_delay_alu instid0(VALU_DEP_4) | instskip(NEXT) | instid1(VALU_DEP_4)
	v_fma_f64 v[122:123], v[180:181], v[110:111], v[122:123]
	v_fma_f64 v[120:121], v[180:181], v[108:109], v[120:121]
	v_add_f64_e64 v[108:109], v[6:7], -v[69:70]
	s_delay_alu instid0(VALU_DEP_3)
	v_fma_f64 v[122:123], v[182:183], v[2:3], v[122:123]
	scratch_load_b128 v[2:5], off, off offset:80 ; 16-byte Folded Reload
	v_fma_f64 v[120:121], v[182:183], v[0:1], v[120:121]
	s_wait_loadcnt 0x0
	v_fma_f64 v[124:125], v[168:169], v[2:3], 0
	v_fma_f64 v[0:1], v[168:169], v[4:5], 0
	v_add_f64_e64 v[110:111], v[2:3], -v[16:17]
	v_add_f64_e64 v[4:5], v[4:5], -v[112:113]
	s_delay_alu instid0(VALU_DEP_4) | instskip(NEXT) | instid1(VALU_DEP_4)
	v_fma_f64 v[124:125], v[170:171], v[136:137], v[124:125]
	v_fma_f64 v[0:1], v[170:171], v[138:139], v[0:1]
	v_add_f64_e64 v[136:137], v[8:9], -v[134:135]
	s_delay_alu instid0(VALU_DEP_3) | instskip(NEXT) | instid1(VALU_DEP_3)
	v_fma_f64 v[124:125], v[172:173], v[160:161], v[124:125]
	v_fma_f64 v[0:1], v[172:173], v[162:163], v[0:1]
	s_delay_alu instid0(VALU_DEP_2) | instskip(SKIP_2) | instid1(VALU_DEP_1)
	v_fma_f64 v[124:125], v[174:175], v[10:11], v[124:125]
	scratch_load_b128 v[10:13], off, off offset:112 ; 16-byte Folded Reload
	v_fma_f64 v[124:125], v[176:177], v[164:165], v[124:125]
	v_fma_f64 v[124:125], v[178:179], v[25:26], v[124:125]
	s_delay_alu instid0(VALU_DEP_1) | instskip(NEXT) | instid1(VALU_DEP_1)
	v_fma_f64 v[124:125], v[180:181], v[130:131], v[124:125]
	v_fma_f64 v[124:125], v[182:183], v[33:34], v[124:125]
	s_wait_loadcnt 0x0
	v_fma_f64 v[0:1], v[174:175], v[12:13], v[0:1]
	s_delay_alu instid0(VALU_DEP_1) | instskip(NEXT) | instid1(VALU_DEP_1)
	v_fma_f64 v[0:1], v[176:177], v[166:167], v[0:1]
	v_fma_f64 v[0:1], v[178:179], v[27:28], v[0:1]
	s_delay_alu instid0(VALU_DEP_1) | instskip(NEXT) | instid1(VALU_DEP_1)
	v_fma_f64 v[0:1], v[180:181], v[132:133], v[0:1]
	v_fma_f64 v[14:15], v[182:183], v[35:36], v[0:1]
	scratch_load_b64 v[0:1], off, off offset:1472 th:TH_LOAD_LU ; 8-byte Folded Reload
	s_wait_loadcnt 0x0
	v_fma_f64 v[20:21], v[0:1], v[188:189], v[96:97]
	v_fma_f64 v[22:23], v[0:1], v[140:141], v[114:115]
	v_fma_f64 v[24:25], v[0:1], v[106:107], v[116:117]
	v_fma_f64 v[26:27], v[0:1], v[104:105], v[118:119]
	v_fma_f64 v[28:29], v[0:1], v[94:95], v[120:121]
	v_fma_f64 v[30:31], v[0:1], v[88:89], v[122:123]
	v_fma_f64 v[32:33], v[0:1], v[75:76], v[124:125]
	v_fma_f64 v[34:35], v[0:1], v[57:58], v[14:15]
	scratch_load_b64 v[0:1], off, off offset:1344 ; 8-byte Folded Reload
	v_dual_mov_b32 v95, v74 :: v_dual_mov_b32 v94, v73
	v_add_f64_e64 v[140:141], v[65:66], -v[53:54]
	v_add_f64_e64 v[106:107], v[67:68], -v[190:191]
	v_dual_mov_b32 v88, v64 :: v_dual_mov_b32 v87, v63
	v_movrels_b32_e32 v58, v21
	v_movrels_b32_e32 v57, v20
	s_wait_loadcnt 0x0
	s_delay_alu instid0(VALU_DEP_1) | instskip(NEXT) | instid1(VALU_DEP_1)
	v_add_f64_e32 v[57:58], v[0:1], v[57:58]
	v_movreld_b32_e32 v20, v57
	s_delay_alu instid0(VALU_DEP_2)
	v_movreld_b32_e32 v21, v58
	s_clause 0x3
	scratch_store_b128 off, v[20:23], off offset:192
	scratch_store_b128 off, v[24:27], off offset:208
	;; [unrolled: 1-line block ×4, first 2 shown]
	s_clause 0x12
	scratch_load_b64 v[8:9], off, off offset:976 th:TH_LOAD_LU
	scratch_load_b64 v[172:173], off, off offset:776 th:TH_LOAD_LU
	;; [unrolled: 1-line block ×19, first 2 shown]
	v_dual_mov_b32 v33, v47 :: v_dual_mov_b32 v34, v48
	s_clause 0x1a
	scratch_load_b64 v[57:58], off, off offset:1248 th:TH_LOAD_LU
	scratch_load_b64 v[55:56], off, off offset:1240 th:TH_LOAD_LU
	;; [unrolled: 1-line block ×27, first 2 shown]
	s_wait_loadcnt 0x2d
	v_fma_f64 v[104:105], v[8:9], v[37:38], 0
	v_fma_f64 v[67:68], v[8:9], v[4:5], 0
	s_wait_loadcnt 0x29
	s_delay_alu instid0(VALU_DEP_2)
	v_fma_f64 v[104:105], v[10:11], v[47:48], v[104:105]
	scratch_load_b64 v[47:48], off, off offset:1224 th:TH_LOAD_LU ; 8-byte Folded Reload
	s_wait_loadcnt 0x1d
	v_fma_f64 v[67:68], v[10:11], v[96:97], v[67:68]
	v_fma_f64 v[104:105], v[12:13], v[71:72], v[104:105]
	scratch_load_b64 v[71:72], off, off offset:1272 th:TH_LOAD_LU ; 8-byte Folded Reload
	v_fma_f64 v[104:105], v[24:25], v[150:151], v[104:105]
	v_dual_mov_b32 v151, v135 :: v_dual_mov_b32 v150, v134
	s_delay_alu instid0(VALU_DEP_2) | instskip(NEXT) | instid1(VALU_DEP_1)
	v_fma_f64 v[104:105], v[35:36], v[85:86], v[104:105]
	v_fma_f64 v[104:105], v[51:52], v[45:46], v[104:105]
	s_clause 0x1
	scratch_load_b64 v[45:46], off, off offset:1176 th:TH_LOAD_LU
	scratch_load_b64 v[128:129], off, off offset:1152 th:TH_LOAD_LU
	v_fma_f64 v[104:105], v[41:42], v[152:153], v[104:105]
	s_delay_alu instid0(VALU_DEP_1) | instskip(SKIP_4) | instid1(VALU_DEP_1)
	v_fma_f64 v[0:1], v[49:50], v[18:19], v[104:105]
	v_fma_f64 v[104:105], v[8:9], v[98:99], 0
	scratch_store_b64 off, v[0:1], off offset:1472 ; 8-byte Folded Spill
	s_wait_loadcnt 0x3
	v_fma_f64 v[104:105], v[10:11], v[47:48], v[104:105]
	v_fma_f64 v[104:105], v[12:13], v[57:58], v[104:105]
	s_delay_alu instid0(VALU_DEP_1) | instskip(NEXT) | instid1(VALU_DEP_1)
	v_fma_f64 v[104:105], v[24:25], v[69:70], v[104:105]
	v_fma_f64 v[104:105], v[35:36], v[102:103], v[104:105]
	scratch_load_b64 v[102:103], off, off offset:1672 th:TH_LOAD_LU ; 8-byte Folded Reload
	v_fma_f64 v[104:105], v[51:52], v[20:21], v[104:105]
	s_delay_alu instid0(VALU_DEP_1) | instskip(SKIP_3) | instid1(VALU_DEP_1)
	v_fma_f64 v[104:105], v[41:42], v[73:74], v[104:105]
	scratch_load_b64 v[73:74], off, off offset:1200 th:TH_LOAD_LU ; 8-byte Folded Reload
	v_fma_f64 v[0:1], v[49:50], v[158:159], v[104:105]
	v_fma_f64 v[104:105], v[8:9], v[140:141], 0
	;; [unrolled: 1-line block ×3, first 2 shown]
	s_wait_loadcnt 0x0
	s_delay_alu instid0(VALU_DEP_1) | instskip(NEXT) | instid1(VALU_DEP_1)
	v_fma_f64 v[104:105], v[12:13], v[73:74], v[104:105]
	v_fma_f64 v[104:105], v[24:25], v[6:7], v[104:105]
	s_delay_alu instid0(VALU_DEP_1) | instskip(NEXT) | instid1(VALU_DEP_1)
	v_fma_f64 v[104:105], v[35:36], v[55:56], v[104:105]
	v_fma_f64 v[104:105], v[51:52], v[134:135], v[104:105]
	;; [unrolled: 3-line block ×3, first 2 shown]
	v_fma_f64 v[104:105], v[8:9], v[106:107], 0
	scratch_store_b64 off, v[2:3], off offset:1512 ; 8-byte Folded Spill
	v_fma_f64 v[104:105], v[10:11], v[22:23], v[104:105]
	s_delay_alu instid0(VALU_DEP_1) | instskip(NEXT) | instid1(VALU_DEP_1)
	v_fma_f64 v[104:105], v[12:13], v[27:28], v[104:105]
	v_fma_f64 v[104:105], v[24:25], v[92:93], v[104:105]
	s_delay_alu instid0(VALU_DEP_1) | instskip(NEXT) | instid1(VALU_DEP_1)
	v_fma_f64 v[104:105], v[35:36], v[90:91], v[104:105]
	v_fma_f64 v[104:105], v[51:52], v[75:76], v[104:105]
	s_delay_alu instid0(VALU_DEP_1)
	v_fma_f64 v[104:105], v[41:42], v[63:64], v[104:105]
	scratch_load_b64 v[63:64], off, off offset:1256 th:TH_LOAD_LU ; 8-byte Folded Reload
	v_fma_f64 v[2:3], v[49:50], v[156:157], v[104:105]
	v_fma_f64 v[104:105], v[8:9], v[108:109], 0
	scratch_store_b64 off, v[0:1], off offset:1504 ; 8-byte Folded Spill
	scratch_load_b64 v[0:1], off, off offset:1712 th:TH_LOAD_LU ; 8-byte Folded Reload
	scratch_store_b64 off, v[2:3], off offset:1488 ; 8-byte Folded Spill
	v_fma_f64 v[104:105], v[10:11], v[172:173], v[104:105]
	s_delay_alu instid0(VALU_DEP_1) | instskip(NEXT) | instid1(VALU_DEP_1)
	v_fma_f64 v[104:105], v[12:13], v[180:181], v[104:105]
	v_fma_f64 v[104:105], v[24:25], v[190:191], v[104:105]
	s_delay_alu instid0(VALU_DEP_1) | instskip(NEXT) | instid1(VALU_DEP_1)
	v_fma_f64 v[104:105], v[35:36], v[146:147], v[104:105]
	v_fma_f64 v[104:105], v[51:52], v[53:54], v[104:105]
	s_wait_loadcnt 0x1
	s_delay_alu instid0(VALU_DEP_1) | instskip(NEXT) | instid1(VALU_DEP_1)
	v_fma_f64 v[104:105], v[41:42], v[63:64], v[104:105]
	v_fma_f64 v[2:3], v[49:50], v[71:72], v[104:105]
	;; [unrolled: 1-line block ×3, first 2 shown]
	s_wait_loadcnt 0x0
	v_dual_mov_b32 v84, v1 :: v_dual_mov_b32 v83, v0
	scratch_store_b64 off, v[2:3], off offset:1520 ; 8-byte Folded Spill
	v_fma_f64 v[104:105], v[10:11], v[31:32], v[104:105]
	s_delay_alu instid0(VALU_DEP_1) | instskip(NEXT) | instid1(VALU_DEP_1)
	v_fma_f64 v[104:105], v[12:13], v[164:165], v[104:105]
	v_fma_f64 v[104:105], v[24:25], v[168:169], v[104:105]
	s_delay_alu instid0(VALU_DEP_1) | instskip(NEXT) | instid1(VALU_DEP_1)
	v_fma_f64 v[104:105], v[35:36], v[174:175], v[104:105]
	;; [unrolled: 3-line block ×3, first 2 shown]
	v_fma_f64 v[2:3], v[49:50], v[43:44], v[104:105]
	v_fma_f64 v[104:105], v[8:9], v[110:111], 0
	scratch_load_b64 v[8:9], off, off offset:1688 th:TH_LOAD_LU ; 8-byte Folded Reload
	scratch_store_b64 off, v[2:3], off offset:1528 ; 8-byte Folded Spill
	v_fma_f64 v[104:105], v[10:11], v[0:1], v[104:105]
	scratch_load_b64 v[10:11], off, off offset:928 th:TH_LOAD_LU ; 8-byte Folded Reload
	v_fma_f64 v[104:105], v[12:13], v[142:143], v[104:105]
	s_delay_alu instid0(VALU_DEP_1) | instskip(NEXT) | instid1(VALU_DEP_1)
	v_fma_f64 v[104:105], v[24:25], v[160:161], v[104:105]
	v_fma_f64 v[104:105], v[35:36], v[182:183], v[104:105]
	s_delay_alu instid0(VALU_DEP_1) | instskip(NEXT) | instid1(VALU_DEP_1)
	v_fma_f64 v[104:105], v[51:52], v[112:113], v[104:105]
	v_fma_f64 v[104:105], v[41:42], v[148:149], v[104:105]
	s_delay_alu instid0(VALU_DEP_1) | instskip(SKIP_4) | instid1(VALU_DEP_1)
	v_fma_f64 v[2:3], v[49:50], v[126:127], v[104:105]
	scratch_load_b64 v[104:105], off, off offset:1696 th:TH_LOAD_LU ; 8-byte Folded Reload
	scratch_store_b64 off, v[2:3], off offset:1480 ; 8-byte Folded Spill
	s_wait_loadcnt 0x0
	v_fma_f64 v[67:68], v[12:13], v[104:105], v[67:68]
	v_fma_f64 v[67:68], v[24:25], v[114:115], v[67:68]
	scratch_load_b64 v[24:25], off, off offset:944 th:TH_LOAD_LU ; 8-byte Folded Reload
	v_fma_f64 v[67:68], v[35:36], v[8:9], v[67:68]
	scratch_load_b64 v[35:36], off, off offset:1664 th:TH_LOAD_LU ; 8-byte Folded Reload
	;; [unrolled: 2-line block ×4, first 2 shown]
	s_wait_loadcnt 0x2
	v_fma_f64 v[162:163], v[49:50], v[35:36], v[67:68]
	scratch_load_b64 v[49:50], off, off offset:960 th:TH_LOAD_LU ; 8-byte Folded Reload
	v_fma_f64 v[67:68], v[24:25], v[37:38], 0
	v_fma_f64 v[65:66], v[24:25], v[4:5], 0
	s_wait_loadcnt 0x1
	s_delay_alu instid0(VALU_DEP_2) | instskip(NEXT) | instid1(VALU_DEP_2)
	v_fma_f64 v[67:68], v[41:42], v[33:34], v[67:68]
	v_fma_f64 v[65:66], v[41:42], v[96:97], v[65:66]
	s_wait_loadcnt 0x0
	s_delay_alu instid0(VALU_DEP_2) | instskip(NEXT) | instid1(VALU_DEP_2)
	v_fma_f64 v[67:68], v[49:50], v[79:80], v[67:68]
	v_fma_f64 v[65:66], v[49:50], v[104:105], v[65:66]
	s_delay_alu instid0(VALU_DEP_2) | instskip(NEXT) | instid1(VALU_DEP_2)
	v_fma_f64 v[67:68], v[51:52], v[39:40], v[67:68]
	v_fma_f64 v[65:66], v[51:52], v[114:115], v[65:66]
	;; [unrolled: 3-line block ×5, first 2 shown]
	v_dual_mov_b32 v153, v123 :: v_dual_mov_b32 v152, v122
	s_delay_alu instid0(VALU_DEP_3) | instskip(SKIP_1) | instid1(VALU_DEP_4)
	v_fma_f64 v[12:13], v[120:121], v[18:19], v[67:68]
	v_fma_f64 v[67:68], v[24:25], v[98:99], 0
	;; [unrolled: 1-line block ×3, first 2 shown]
	scratch_store_b64 off, v[12:13], off offset:976 ; 8-byte Folded Spill
	v_fma_f64 v[67:68], v[41:42], v[47:48], v[67:68]
	scratch_store_b64 off, v[2:3], off offset:944 ; 8-byte Folded Spill
	v_fma_f64 v[67:68], v[49:50], v[57:58], v[67:68]
	s_delay_alu instid0(VALU_DEP_1) | instskip(NEXT) | instid1(VALU_DEP_1)
	v_fma_f64 v[67:68], v[51:52], v[69:70], v[67:68]
	v_fma_f64 v[67:68], v[116:117], v[81:82], v[67:68]
	s_delay_alu instid0(VALU_DEP_1) | instskip(NEXT) | instid1(VALU_DEP_1)
	v_fma_f64 v[67:68], v[59:60], v[20:21], v[67:68]
	v_fma_f64 v[67:68], v[118:119], v[94:95], v[67:68]
	s_delay_alu instid0(VALU_DEP_1) | instskip(SKIP_3) | instid1(VALU_DEP_1)
	v_fma_f64 v[12:13], v[120:121], v[158:159], v[67:68]
	v_fma_f64 v[67:68], v[24:25], v[140:141], 0
	scratch_store_b64 off, v[12:13], off offset:984 ; 8-byte Folded Spill
	v_fma_f64 v[67:68], v[41:42], v[29:30], v[67:68]
	v_fma_f64 v[67:68], v[49:50], v[73:74], v[67:68]
	s_delay_alu instid0(VALU_DEP_1) | instskip(NEXT) | instid1(VALU_DEP_1)
	v_fma_f64 v[67:68], v[51:52], v[6:7], v[67:68]
	v_fma_f64 v[67:68], v[116:117], v[55:56], v[67:68]
	s_delay_alu instid0(VALU_DEP_1) | instskip(NEXT) | instid1(VALU_DEP_1)
	v_fma_f64 v[67:68], v[59:60], v[134:135], v[67:68]
	v_fma_f64 v[67:68], v[118:119], v[188:189], v[67:68]
	s_delay_alu instid0(VALU_DEP_1) | instskip(SKIP_3) | instid1(VALU_DEP_1)
	v_fma_f64 v[12:13], v[120:121], v[122:123], v[67:68]
	v_fma_f64 v[67:68], v[24:25], v[106:107], 0
	scratch_store_b64 off, v[12:13], off offset:992 ; 8-byte Folded Spill
	v_fma_f64 v[67:68], v[41:42], v[22:23], v[67:68]
	;; [unrolled: 12-line block ×4, first 2 shown]
	v_fma_f64 v[67:68], v[49:50], v[164:165], v[67:68]
	s_delay_alu instid0(VALU_DEP_1) | instskip(NEXT) | instid1(VALU_DEP_1)
	v_fma_f64 v[67:68], v[51:52], v[168:169], v[67:68]
	v_fma_f64 v[67:68], v[116:117], v[174:175], v[67:68]
	s_delay_alu instid0(VALU_DEP_1) | instskip(NEXT) | instid1(VALU_DEP_1)
	v_fma_f64 v[67:68], v[59:60], v[128:129], v[67:68]
	v_fma_f64 v[67:68], v[118:119], v[45:46], v[67:68]
	s_delay_alu instid0(VALU_DEP_1)
	v_fma_f64 v[12:13], v[120:121], v[43:44], v[67:68]
	v_fma_f64 v[67:68], v[24:25], v[110:111], 0
	scratch_load_b64 v[24:25], off, off offset:1608 th:TH_LOAD_LU ; 8-byte Folded Reload
	scratch_store_b64 off, v[12:13], off offset:1536 ; 8-byte Folded Spill
	v_fma_f64 v[67:68], v[41:42], v[0:1], v[67:68]
	s_clause 0x1
	scratch_load_b64 v[41:42], off, off offset:544 th:TH_LOAD_LU
	scratch_load_b64 v[12:13], off, off offset:936 th:TH_LOAD_LU
	v_fma_f64 v[67:68], v[49:50], v[142:143], v[67:68]
	s_delay_alu instid0(VALU_DEP_1) | instskip(NEXT) | instid1(VALU_DEP_1)
	v_fma_f64 v[67:68], v[51:52], v[160:161], v[67:68]
	v_fma_f64 v[67:68], v[116:117], v[182:183], v[67:68]
	v_dual_mov_b32 v117, v9 :: v_dual_mov_b32 v116, v8
	scratch_load_b64 v[8:9], off, off offset:920 th:TH_LOAD_LU ; 8-byte Folded Reload
	v_fma_f64 v[67:68], v[59:60], v[112:113], v[67:68]
	s_delay_alu instid0(VALU_DEP_1) | instskip(NEXT) | instid1(VALU_DEP_1)
	v_fma_f64 v[67:68], v[118:119], v[148:149], v[67:68]
	v_fma_f64 v[0:1], v[120:121], v[126:127], v[67:68]
	v_dual_mov_b32 v68, v5 :: v_dual_mov_b32 v67, v4
	v_dual_mov_b32 v4, v20 :: v_dual_mov_b32 v5, v21
	scratch_load_b64 v[20:21], off, off offset:1600 th:TH_LOAD_LU ; 8-byte Folded Reload
	s_wait_loadcnt 0x3
	v_fma_f64 v[65:66], v[41:42], v[37:38], 0
	v_fma_f64 v[51:52], v[41:42], v[67:68], 0
	s_wait_loadcnt 0x1
	s_delay_alu instid0(VALU_DEP_2) | instskip(NEXT) | instid1(VALU_DEP_2)
	v_fma_f64 v[65:66], v[8:9], v[33:34], v[65:66]
	v_fma_f64 v[51:52], v[8:9], v[96:97], v[51:52]
	s_delay_alu instid0(VALU_DEP_2) | instskip(NEXT) | instid1(VALU_DEP_2)
	v_fma_f64 v[65:66], v[10:11], v[79:80], v[65:66]
	v_fma_f64 v[51:52], v[10:11], v[104:105], v[51:52]
	;; [unrolled: 3-line block ×5, first 2 shown]
	s_wait_loadcnt 0x0
	s_delay_alu instid0(VALU_DEP_2) | instskip(NEXT) | instid1(VALU_DEP_2)
	v_fma_f64 v[65:66], v[20:21], v[77:78], v[65:66]
	v_fma_f64 v[51:52], v[20:21], v[102:103], v[51:52]
	s_delay_alu instid0(VALU_DEP_2)
	v_fma_f64 v[2:3], v[24:25], v[18:19], v[65:66]
	v_fma_f64 v[65:66], v[41:42], v[98:99], 0
	s_clause 0x1
	scratch_store_b64 off, v[0:1], off offset:1544
	scratch_store_b64 off, v[2:3], off offset:952
	v_fma_f64 v[65:66], v[8:9], v[47:48], v[65:66]
	s_delay_alu instid0(VALU_DEP_1) | instskip(NEXT) | instid1(VALU_DEP_1)
	v_fma_f64 v[65:66], v[10:11], v[57:58], v[65:66]
	v_fma_f64 v[65:66], v[12:13], v[69:70], v[65:66]
	s_delay_alu instid0(VALU_DEP_1) | instskip(NEXT) | instid1(VALU_DEP_1)
	v_fma_f64 v[65:66], v[14:15], v[81:82], v[65:66]
	v_fma_f64 v[65:66], v[16:17], v[4:5], v[65:66]
	s_delay_alu instid0(VALU_DEP_1) | instskip(NEXT) | instid1(VALU_DEP_1)
	v_fma_f64 v[65:66], v[20:21], v[94:95], v[65:66]
	v_fma_f64 v[2:3], v[24:25], v[158:159], v[65:66]
	v_fma_f64 v[65:66], v[41:42], v[140:141], 0
	scratch_store_b64 off, v[2:3], off offset:960 ; 8-byte Folded Spill
	v_fma_f64 v[65:66], v[8:9], v[29:30], v[65:66]
	s_delay_alu instid0(VALU_DEP_1) | instskip(NEXT) | instid1(VALU_DEP_1)
	v_fma_f64 v[65:66], v[10:11], v[73:74], v[65:66]
	v_fma_f64 v[65:66], v[12:13], v[6:7], v[65:66]
	s_delay_alu instid0(VALU_DEP_1) | instskip(NEXT) | instid1(VALU_DEP_1)
	v_fma_f64 v[65:66], v[14:15], v[55:56], v[65:66]
	v_fma_f64 v[65:66], v[16:17], v[134:135], v[65:66]
	s_delay_alu instid0(VALU_DEP_1) | instskip(NEXT) | instid1(VALU_DEP_1)
	v_fma_f64 v[65:66], v[20:21], v[188:189], v[65:66]
	v_fma_f64 v[2:3], v[24:25], v[152:153], v[65:66]
	v_fma_f64 v[65:66], v[41:42], v[106:107], 0
	scratch_store_b64 off, v[2:3], off offset:968 ; 8-byte Folded Spill
	;; [unrolled: 12-line block ×4, first 2 shown]
	v_fma_f64 v[65:66], v[8:9], v[31:32], v[65:66]
	s_delay_alu instid0(VALU_DEP_1) | instskip(NEXT) | instid1(VALU_DEP_1)
	v_fma_f64 v[65:66], v[10:11], v[164:165], v[65:66]
	v_fma_f64 v[65:66], v[12:13], v[168:169], v[65:66]
	s_delay_alu instid0(VALU_DEP_1) | instskip(NEXT) | instid1(VALU_DEP_1)
	v_fma_f64 v[65:66], v[14:15], v[174:175], v[65:66]
	;; [unrolled: 3-line block ×3, first 2 shown]
	v_fma_f64 v[2:3], v[24:25], v[43:44], v[65:66]
	v_fma_f64 v[65:66], v[41:42], v[110:111], 0
	scratch_load_b64 v[41:42], off, off offset:1648 th:TH_LOAD_LU ; 8-byte Folded Reload
	v_fma_f64 v[65:66], v[8:9], v[83:84], v[65:66]
	scratch_load_b64 v[8:9], off, off offset:896 th:TH_LOAD_LU ; 8-byte Folded Reload
	;; [unrolled: 2-line block ×7, first 2 shown]
	v_fma_f64 v[0:1], v[24:25], v[126:127], v[65:66]
	s_clause 0x1
	scratch_store_b64 off, v[2:3], off offset:1568
	scratch_store_b64 off, v[0:1], off offset:1576
	v_fma_f64 v[0:1], v[24:25], v[35:36], v[51:52]
	scratch_load_b64 v[24:25], off, off offset:1640 th:TH_LOAD_LU ; 8-byte Folded Reload
	s_wait_loadcnt 0x6
	v_fma_f64 v[51:52], v[8:9], v[37:38], 0
	s_wait_loadcnt 0x5
	s_delay_alu instid0(VALU_DEP_1) | instskip(SKIP_1) | instid1(VALU_DEP_1)
	v_fma_f64 v[51:52], v[10:11], v[33:34], v[51:52]
	s_wait_loadcnt 0x4
	v_fma_f64 v[51:52], v[12:13], v[79:80], v[51:52]
	s_wait_loadcnt 0x3
	s_delay_alu instid0(VALU_DEP_1) | instskip(SKIP_1) | instid1(VALU_DEP_1)
	v_fma_f64 v[51:52], v[14:15], v[39:40], v[51:52]
	s_wait_loadcnt 0x2
	v_fma_f64 v[51:52], v[16:17], v[85:86], v[51:52]
	s_wait_loadcnt 0x1
	s_delay_alu instid0(VALU_DEP_1) | instskip(SKIP_1) | instid1(VALU_DEP_1)
	v_fma_f64 v[51:52], v[20:21], v[61:62], v[51:52]
	s_wait_loadcnt 0x0
	v_fma_f64 v[51:52], v[24:25], v[77:78], v[51:52]
	s_delay_alu instid0(VALU_DEP_1)
	v_fma_f64 v[2:3], v[41:42], v[18:19], v[51:52]
	v_fma_f64 v[51:52], v[8:9], v[98:99], 0
	s_clause 0x1
	scratch_store_b64 off, v[0:1], off offset:1592
	scratch_store_b64 off, v[2:3], off offset:544
	v_fma_f64 v[51:52], v[10:11], v[47:48], v[51:52]
	s_delay_alu instid0(VALU_DEP_1) | instskip(NEXT) | instid1(VALU_DEP_1)
	v_fma_f64 v[51:52], v[12:13], v[57:58], v[51:52]
	v_fma_f64 v[51:52], v[14:15], v[69:70], v[51:52]
	s_delay_alu instid0(VALU_DEP_1) | instskip(NEXT) | instid1(VALU_DEP_1)
	v_fma_f64 v[51:52], v[16:17], v[81:82], v[51:52]
	;; [unrolled: 3-line block ×3, first 2 shown]
	v_fma_f64 v[2:3], v[41:42], v[158:159], v[51:52]
	v_fma_f64 v[51:52], v[8:9], v[140:141], 0
	scratch_store_b64 off, v[2:3], off offset:920 ; 8-byte Folded Spill
	v_fma_f64 v[51:52], v[10:11], v[29:30], v[51:52]
	s_delay_alu instid0(VALU_DEP_1) | instskip(NEXT) | instid1(VALU_DEP_1)
	v_fma_f64 v[51:52], v[12:13], v[73:74], v[51:52]
	v_fma_f64 v[51:52], v[14:15], v[6:7], v[51:52]
	s_delay_alu instid0(VALU_DEP_1) | instskip(NEXT) | instid1(VALU_DEP_1)
	v_fma_f64 v[51:52], v[16:17], v[55:56], v[51:52]
	;; [unrolled: 3-line block ×3, first 2 shown]
	v_fma_f64 v[2:3], v[41:42], v[152:153], v[51:52]
	v_fma_f64 v[51:52], v[8:9], v[106:107], 0
	scratch_store_b64 off, v[2:3], off offset:928 ; 8-byte Folded Spill
	v_fma_f64 v[51:52], v[10:11], v[22:23], v[51:52]
	s_delay_alu instid0(VALU_DEP_1) | instskip(NEXT) | instid1(VALU_DEP_1)
	v_fma_f64 v[51:52], v[12:13], v[27:28], v[51:52]
	v_fma_f64 v[51:52], v[14:15], v[92:93], v[51:52]
	s_delay_alu instid0(VALU_DEP_1) | instskip(NEXT) | instid1(VALU_DEP_1)
	v_fma_f64 v[51:52], v[16:17], v[90:91], v[51:52]
	;; [unrolled: 3-line block ×3, first 2 shown]
	v_fma_f64 v[2:3], v[41:42], v[156:157], v[51:52]
	v_fma_f64 v[51:52], v[8:9], v[108:109], 0
	s_delay_alu instid0(VALU_DEP_1) | instskip(NEXT) | instid1(VALU_DEP_1)
	v_fma_f64 v[51:52], v[10:11], v[172:173], v[51:52]
	v_fma_f64 v[51:52], v[12:13], v[180:181], v[51:52]
	s_delay_alu instid0(VALU_DEP_1) | instskip(NEXT) | instid1(VALU_DEP_1)
	;; [unrolled: 3-line block ×3, first 2 shown]
	v_fma_f64 v[51:52], v[20:21], v[53:54], v[51:52]
	v_fma_f64 v[51:52], v[24:25], v[63:64], v[51:52]
	s_delay_alu instid0(VALU_DEP_1) | instskip(SKIP_3) | instid1(VALU_DEP_1)
	v_fma_f64 v[0:1], v[41:42], v[71:72], v[51:52]
	v_fma_f64 v[51:52], v[8:9], v[136:137], 0
	scratch_store_b64 off, v[0:1], off offset:1584 ; 8-byte Folded Spill
	v_fma_f64 v[51:52], v[10:11], v[31:32], v[51:52]
	v_fma_f64 v[51:52], v[12:13], v[164:165], v[51:52]
	s_delay_alu instid0(VALU_DEP_1) | instskip(NEXT) | instid1(VALU_DEP_1)
	v_fma_f64 v[51:52], v[14:15], v[168:169], v[51:52]
	v_fma_f64 v[51:52], v[16:17], v[174:175], v[51:52]
	s_delay_alu instid0(VALU_DEP_1) | instskip(NEXT) | instid1(VALU_DEP_1)
	v_fma_f64 v[51:52], v[20:21], v[128:129], v[51:52]
	v_fma_f64 v[51:52], v[24:25], v[45:46], v[51:52]
	s_delay_alu instid0(VALU_DEP_1) | instskip(SKIP_3) | instid1(VALU_DEP_1)
	v_fma_f64 v[0:1], v[41:42], v[43:44], v[51:52]
	v_fma_f64 v[51:52], v[8:9], v[110:111], 0
	scratch_store_b64 off, v[0:1], off offset:1600 ; 8-byte Folded Spill
	v_fma_f64 v[51:52], v[10:11], v[83:84], v[51:52]
	v_fma_f64 v[51:52], v[12:13], v[142:143], v[51:52]
	s_delay_alu instid0(VALU_DEP_1) | instskip(NEXT) | instid1(VALU_DEP_1)
	v_fma_f64 v[51:52], v[14:15], v[160:161], v[51:52]
	v_fma_f64 v[51:52], v[16:17], v[182:183], v[51:52]
	s_delay_alu instid0(VALU_DEP_1) | instskip(NEXT) | instid1(VALU_DEP_1)
	v_fma_f64 v[51:52], v[20:21], v[112:113], v[51:52]
	v_fma_f64 v[51:52], v[24:25], v[148:149], v[51:52]
	s_delay_alu instid0(VALU_DEP_1)
	v_fma_f64 v[0:1], v[41:42], v[126:127], v[51:52]
	v_fma_f64 v[51:52], v[8:9], v[67:68], 0
	scratch_load_b64 v[8:9], off, off offset:872 th:TH_LOAD_LU ; 8-byte Folded Reload
	scratch_store_b64 off, v[0:1], off offset:1608 ; 8-byte Folded Spill
	v_fma_f64 v[49:50], v[10:11], v[96:97], v[51:52]
	scratch_load_b64 v[10:11], off, off offset:880 th:TH_LOAD_LU ; 8-byte Folded Reload
	v_fma_f64 v[49:50], v[12:13], v[104:105], v[49:50]
	scratch_load_b64 v[12:13], off, off offset:888 th:TH_LOAD_LU ; 8-byte Folded Reload
	;; [unrolled: 2-line block ×6, first 2 shown]
	v_fma_f64 v[0:1], v[41:42], v[35:36], v[49:50]
	scratch_store_b64 off, v[2:3], off offset:936 ; 8-byte Folded Spill
	s_clause 0x1
	scratch_load_b64 v[2:3], off, off offset:864 th:TH_LOAD_LU
	scratch_load_b64 v[41:42], off, off offset:832 th:TH_LOAD_LU
	scratch_store_b64 off, v[0:1], off offset:896 ; 8-byte Folded Spill
	s_wait_loadcnt 0x1
	v_fma_f64 v[49:50], v[2:3], v[37:38], 0
	v_fma_f64 v[51:52], v[2:3], v[108:109], 0
	s_delay_alu instid0(VALU_DEP_2) | instskip(NEXT) | instid1(VALU_DEP_2)
	v_fma_f64 v[49:50], v[8:9], v[33:34], v[49:50]
	v_fma_f64 v[51:52], v[8:9], v[172:173], v[51:52]
	s_delay_alu instid0(VALU_DEP_2) | instskip(NEXT) | instid1(VALU_DEP_2)
	;; [unrolled: 3-line block ×6, first 2 shown]
	v_fma_f64 v[49:50], v[16:17], v[77:78], v[49:50]
	v_fma_f64 v[51:52], v[16:17], v[63:64], v[51:52]
	s_delay_alu instid0(VALU_DEP_2) | instskip(SKIP_1) | instid1(VALU_DEP_3)
	v_fma_f64 v[154:155], v[20:21], v[18:19], v[49:50]
	v_fma_f64 v[49:50], v[2:3], v[98:99], 0
	;; [unrolled: 1-line block ×4, first 2 shown]
	s_delay_alu instid0(VALU_DEP_3) | instskip(NEXT) | instid1(VALU_DEP_2)
	v_fma_f64 v[49:50], v[8:9], v[47:48], v[49:50]
	v_fma_f64 v[51:52], v[8:9], v[31:32], v[51:52]
	s_delay_alu instid0(VALU_DEP_2) | instskip(NEXT) | instid1(VALU_DEP_2)
	v_fma_f64 v[49:50], v[10:11], v[57:58], v[49:50]
	v_fma_f64 v[51:52], v[10:11], v[164:165], v[51:52]
	s_delay_alu instid0(VALU_DEP_2) | instskip(NEXT) | instid1(VALU_DEP_2)
	;; [unrolled: 3-line block ×5, first 2 shown]
	v_fma_f64 v[49:50], v[16:17], v[94:95], v[49:50]
	v_fma_f64 v[51:52], v[16:17], v[45:46], v[51:52]
	s_delay_alu instid0(VALU_DEP_2) | instskip(SKIP_1) | instid1(VALU_DEP_3)
	v_fma_f64 v[144:145], v[20:21], v[158:159], v[49:50]
	v_fma_f64 v[49:50], v[2:3], v[140:141], 0
	;; [unrolled: 1-line block ×4, first 2 shown]
	s_delay_alu instid0(VALU_DEP_3) | instskip(NEXT) | instid1(VALU_DEP_2)
	v_fma_f64 v[49:50], v[8:9], v[29:30], v[49:50]
	v_fma_f64 v[51:52], v[8:9], v[83:84], v[51:52]
	s_delay_alu instid0(VALU_DEP_2) | instskip(NEXT) | instid1(VALU_DEP_2)
	v_fma_f64 v[49:50], v[10:11], v[73:74], v[49:50]
	v_fma_f64 v[51:52], v[10:11], v[142:143], v[51:52]
	s_delay_alu instid0(VALU_DEP_2) | instskip(NEXT) | instid1(VALU_DEP_2)
	;; [unrolled: 3-line block ×5, first 2 shown]
	v_fma_f64 v[49:50], v[16:17], v[188:189], v[49:50]
	v_fma_f64 v[51:52], v[16:17], v[148:149], v[51:52]
	s_delay_alu instid0(VALU_DEP_2)
	v_fma_f64 v[0:1], v[20:21], v[152:153], v[49:50]
	v_fma_f64 v[49:50], v[2:3], v[106:107], 0
	scratch_store_b64 off, v[0:1], off offset:512 ; 8-byte Folded Spill
	v_fma_f64 v[0:1], v[20:21], v[126:127], v[51:52]
	v_fma_f64 v[49:50], v[8:9], v[22:23], v[49:50]
	scratch_store_b64 off, v[0:1], off offset:904 ; 8-byte Folded Spill
	v_dual_mov_b32 v0, v18 :: v_dual_mov_b32 v1, v19
	v_fma_f64 v[18:19], v[2:3], v[67:68], 0
	v_fma_f64 v[49:50], v[10:11], v[27:28], v[49:50]
	s_delay_alu instid0(VALU_DEP_2) | instskip(NEXT) | instid1(VALU_DEP_2)
	v_fma_f64 v[18:19], v[8:9], v[96:97], v[18:19]
	v_fma_f64 v[49:50], v[12:13], v[92:93], v[49:50]
	scratch_load_b64 v[8:9], off, off offset:856 th:TH_LOAD_LU ; 8-byte Folded Reload
	v_fma_f64 v[18:19], v[10:11], v[104:105], v[18:19]
	v_fma_f64 v[49:50], v[14:15], v[90:91], v[49:50]
	scratch_load_b64 v[10:11], off, off offset:1424 th:TH_LOAD_LU ; 8-byte Folded Reload
	;; [unrolled: 3-line block ×5, first 2 shown]
	v_fma_f64 v[18:19], v[16:17], v[102:103], v[18:19]
	scratch_load_b64 v[16:17], off, off offset:1160 th:TH_LOAD_LU ; 8-byte Folded Reload
	v_fma_f64 v[2:3], v[20:21], v[35:36], v[18:19]
	scratch_load_b64 v[20:21], off, off offset:1464 th:TH_LOAD_LU ; 8-byte Folded Reload
	scratch_store_b64 off, v[2:3], off offset:864 ; 8-byte Folded Spill
	scratch_load_b64 v[2:3], off, off offset:848 th:TH_LOAD_LU ; 8-byte Folded Reload
	s_wait_loadcnt 0x0
	v_fma_f64 v[18:19], v[2:3], v[37:38], 0
	s_delay_alu instid0(VALU_DEP_1) | instskip(NEXT) | instid1(VALU_DEP_1)
	v_fma_f64 v[18:19], v[8:9], v[33:34], v[18:19]
	v_fma_f64 v[18:19], v[10:11], v[79:80], v[18:19]
	s_delay_alu instid0(VALU_DEP_1) | instskip(NEXT) | instid1(VALU_DEP_1)
	v_fma_f64 v[18:19], v[16:17], v[39:40], v[18:19]
	v_fma_f64 v[18:19], v[12:13], v[85:86], v[18:19]
	s_delay_alu instid0(VALU_DEP_1) | instskip(NEXT) | instid1(VALU_DEP_1)
	v_fma_f64 v[18:19], v[14:15], v[61:62], v[18:19]
	v_fma_f64 v[18:19], v[20:21], v[77:78], v[18:19]
	s_delay_alu instid0(VALU_DEP_1) | instskip(SKIP_1) | instid1(VALU_DEP_1)
	v_fma_f64 v[124:125], v[24:25], v[0:1], v[18:19]
	v_fma_f64 v[18:19], v[2:3], v[98:99], 0
	v_fma_f64 v[18:19], v[8:9], v[47:48], v[18:19]
	s_delay_alu instid0(VALU_DEP_1) | instskip(NEXT) | instid1(VALU_DEP_1)
	v_fma_f64 v[18:19], v[10:11], v[57:58], v[18:19]
	v_fma_f64 v[18:19], v[16:17], v[69:70], v[18:19]
	s_delay_alu instid0(VALU_DEP_1) | instskip(NEXT) | instid1(VALU_DEP_1)
	v_fma_f64 v[18:19], v[12:13], v[81:82], v[18:19]
	v_fma_f64 v[18:19], v[14:15], v[4:5], v[18:19]
	s_delay_alu instid0(VALU_DEP_1) | instskip(NEXT) | instid1(VALU_DEP_1)
	v_fma_f64 v[18:19], v[20:21], v[94:95], v[18:19]
	v_fma_f64 v[122:123], v[24:25], v[158:159], v[18:19]
	v_fma_f64 v[18:19], v[2:3], v[140:141], 0
	s_delay_alu instid0(VALU_DEP_1) | instskip(NEXT) | instid1(VALU_DEP_1)
	v_fma_f64 v[18:19], v[8:9], v[29:30], v[18:19]
	v_fma_f64 v[18:19], v[10:11], v[73:74], v[18:19]
	s_delay_alu instid0(VALU_DEP_1) | instskip(NEXT) | instid1(VALU_DEP_1)
	v_fma_f64 v[18:19], v[16:17], v[6:7], v[18:19]
	v_fma_f64 v[18:19], v[12:13], v[55:56], v[18:19]
	s_delay_alu instid0(VALU_DEP_1) | instskip(NEXT) | instid1(VALU_DEP_1)
	v_fma_f64 v[18:19], v[14:15], v[134:135], v[18:19]
	v_fma_f64 v[18:19], v[20:21], v[188:189], v[18:19]
	s_delay_alu instid0(VALU_DEP_1) | instskip(SKIP_1) | instid1(VALU_DEP_1)
	v_fma_f64 v[178:179], v[24:25], v[152:153], v[18:19]
	v_fma_f64 v[18:19], v[2:3], v[106:107], 0
	v_fma_f64 v[18:19], v[8:9], v[22:23], v[18:19]
	s_delay_alu instid0(VALU_DEP_1) | instskip(NEXT) | instid1(VALU_DEP_1)
	v_fma_f64 v[18:19], v[10:11], v[27:28], v[18:19]
	v_fma_f64 v[18:19], v[16:17], v[92:93], v[18:19]
	s_delay_alu instid0(VALU_DEP_1) | instskip(NEXT) | instid1(VALU_DEP_1)
	v_fma_f64 v[18:19], v[12:13], v[90:91], v[18:19]
	v_fma_f64 v[18:19], v[14:15], v[75:76], v[18:19]
	s_delay_alu instid0(VALU_DEP_1) | instskip(NEXT) | instid1(VALU_DEP_1)
	v_fma_f64 v[18:19], v[20:21], v[87:88], v[18:19]
	v_fma_f64 v[120:121], v[24:25], v[156:157], v[18:19]
	;; [unrolled: 23-line block ×3, first 2 shown]
	v_fma_f64 v[18:19], v[2:3], v[110:111], 0
	s_delay_alu instid0(VALU_DEP_1) | instskip(NEXT) | instid1(VALU_DEP_1)
	v_fma_f64 v[18:19], v[8:9], v[83:84], v[18:19]
	v_fma_f64 v[18:19], v[10:11], v[142:143], v[18:19]
	s_delay_alu instid0(VALU_DEP_1) | instskip(NEXT) | instid1(VALU_DEP_1)
	v_fma_f64 v[18:19], v[16:17], v[160:161], v[18:19]
	;; [unrolled: 3-line block ×3, first 2 shown]
	v_fma_f64 v[18:19], v[20:21], v[148:149], v[18:19]
	s_delay_alu instid0(VALU_DEP_1) | instskip(SKIP_2) | instid1(VALU_DEP_1)
	v_fma_f64 v[18:19], v[24:25], v[126:127], v[18:19]
	scratch_store_b64 off, v[18:19], off offset:872 ; 8-byte Folded Spill
	v_fma_f64 v[18:19], v[2:3], v[67:68], 0
	v_fma_f64 v[18:19], v[8:9], v[96:97], v[18:19]
	scratch_load_b64 v[8:9], off, off offset:1400 th:TH_LOAD_LU ; 8-byte Folded Reload
	v_fma_f64 v[18:19], v[10:11], v[104:105], v[18:19]
	scratch_load_b64 v[10:11], off, off offset:1016 th:TH_LOAD_LU ; 8-byte Folded Reload
	;; [unrolled: 2-line block ×7, first 2 shown]
	scratch_store_b64 off, v[2:3], off offset:848 ; 8-byte Folded Spill
	scratch_load_b64 v[2:3], off, off offset:840 th:TH_LOAD_LU ; 8-byte Folded Reload
	s_wait_loadcnt 0x0
	v_fma_f64 v[18:19], v[2:3], v[37:38], 0
	v_fma_f64 v[59:60], v[2:3], v[67:68], 0
	s_delay_alu instid0(VALU_DEP_2) | instskip(NEXT) | instid1(VALU_DEP_2)
	v_fma_f64 v[18:19], v[24:25], v[33:34], v[18:19]
	v_fma_f64 v[59:60], v[24:25], v[96:97], v[59:60]
	s_delay_alu instid0(VALU_DEP_2) | instskip(NEXT) | instid1(VALU_DEP_2)
	;; [unrolled: 3-line block ×6, first 2 shown]
	v_fma_f64 v[18:19], v[16:17], v[77:78], v[18:19]
	v_fma_f64 v[59:60], v[16:17], v[102:103], v[59:60]
	s_delay_alu instid0(VALU_DEP_2) | instskip(SKIP_1) | instid1(VALU_DEP_1)
	v_fma_f64 v[51:52], v[20:21], v[0:1], v[18:19]
	v_fma_f64 v[18:19], v[2:3], v[98:99], 0
	;; [unrolled: 1-line block ×3, first 2 shown]
	s_delay_alu instid0(VALU_DEP_1) | instskip(NEXT) | instid1(VALU_DEP_1)
	v_fma_f64 v[18:19], v[8:9], v[57:58], v[18:19]
	v_fma_f64 v[18:19], v[10:11], v[69:70], v[18:19]
	s_delay_alu instid0(VALU_DEP_1) | instskip(NEXT) | instid1(VALU_DEP_1)
	v_fma_f64 v[18:19], v[12:13], v[81:82], v[18:19]
	v_fma_f64 v[18:19], v[14:15], v[4:5], v[18:19]
	;; [unrolled: 3-line block ×3, first 2 shown]
	v_fma_f64 v[18:19], v[2:3], v[140:141], 0
	s_delay_alu instid0(VALU_DEP_1) | instskip(NEXT) | instid1(VALU_DEP_1)
	v_fma_f64 v[18:19], v[24:25], v[29:30], v[18:19]
	v_fma_f64 v[18:19], v[8:9], v[73:74], v[18:19]
	s_delay_alu instid0(VALU_DEP_1) | instskip(NEXT) | instid1(VALU_DEP_1)
	v_fma_f64 v[18:19], v[10:11], v[6:7], v[18:19]
	;; [unrolled: 3-line block ×3, first 2 shown]
	v_fma_f64 v[18:19], v[16:17], v[188:189], v[18:19]
	s_delay_alu instid0(VALU_DEP_1) | instskip(SKIP_1) | instid1(VALU_DEP_1)
	v_fma_f64 v[65:66], v[20:21], v[152:153], v[18:19]
	v_fma_f64 v[18:19], v[2:3], v[106:107], 0
	;; [unrolled: 1-line block ×3, first 2 shown]
	s_delay_alu instid0(VALU_DEP_1) | instskip(NEXT) | instid1(VALU_DEP_1)
	v_fma_f64 v[18:19], v[8:9], v[27:28], v[18:19]
	v_fma_f64 v[18:19], v[10:11], v[92:93], v[18:19]
	s_delay_alu instid0(VALU_DEP_1) | instskip(NEXT) | instid1(VALU_DEP_1)
	v_fma_f64 v[18:19], v[12:13], v[90:91], v[18:19]
	v_fma_f64 v[18:19], v[14:15], v[75:76], v[18:19]
	;; [unrolled: 3-line block ×3, first 2 shown]
	v_fma_f64 v[18:19], v[2:3], v[108:109], 0
	s_delay_alu instid0(VALU_DEP_1) | instskip(NEXT) | instid1(VALU_DEP_1)
	v_fma_f64 v[18:19], v[24:25], v[172:173], v[18:19]
	v_fma_f64 v[18:19], v[8:9], v[180:181], v[18:19]
	s_delay_alu instid0(VALU_DEP_1) | instskip(NEXT) | instid1(VALU_DEP_1)
	v_fma_f64 v[18:19], v[10:11], v[190:191], v[18:19]
	;; [unrolled: 3-line block ×3, first 2 shown]
	v_fma_f64 v[18:19], v[16:17], v[63:64], v[18:19]
	s_delay_alu instid0(VALU_DEP_1) | instskip(SKIP_1) | instid1(VALU_DEP_1)
	v_fma_f64 v[176:177], v[20:21], v[71:72], v[18:19]
	v_fma_f64 v[18:19], v[2:3], v[136:137], 0
	v_fma_f64 v[18:19], v[24:25], v[31:32], v[18:19]
	s_delay_alu instid0(VALU_DEP_1) | instskip(NEXT) | instid1(VALU_DEP_1)
	v_fma_f64 v[18:19], v[8:9], v[164:165], v[18:19]
	v_fma_f64 v[18:19], v[10:11], v[168:169], v[18:19]
	s_delay_alu instid0(VALU_DEP_1) | instskip(NEXT) | instid1(VALU_DEP_1)
	v_fma_f64 v[18:19], v[12:13], v[174:175], v[18:19]
	v_fma_f64 v[18:19], v[14:15], v[128:129], v[18:19]
	;; [unrolled: 3-line block ×3, first 2 shown]
	v_fma_f64 v[18:19], v[2:3], v[110:111], 0
	scratch_load_b64 v[2:3], off, off offset:1376 th:TH_LOAD_LU ; 8-byte Folded Reload
	v_fma_f64 v[18:19], v[24:25], v[83:84], v[18:19]
	v_fma_f64 v[25:26], v[41:42], v[98:99], 0
	s_delay_alu instid0(VALU_DEP_2)
	v_fma_f64 v[18:19], v[8:9], v[142:143], v[18:19]
	scratch_load_b64 v[8:9], off, off offset:1384 th:TH_LOAD_LU ; 8-byte Folded Reload
	v_fma_f64 v[18:19], v[10:11], v[160:161], v[18:19]
	scratch_load_b64 v[10:11], off, off offset:1392 th:TH_LOAD_LU ; 8-byte Folded Reload
	;; [unrolled: 2-line block ×3, first 2 shown]
	v_fma_f64 v[18:19], v[14:15], v[112:113], v[18:19]
	v_fma_f64 v[14:15], v[20:21], v[35:36], v[59:60]
	;; [unrolled: 1-line block ×3, first 2 shown]
	scratch_load_b64 v[37:38], off, off offset:824 th:TH_LOAD_LU ; 8-byte Folded Reload
	v_fma_f64 v[18:19], v[16:17], v[148:149], v[18:19]
	s_delay_alu instid0(VALU_DEP_1)
	v_fma_f64 v[18:19], v[20:21], v[126:127], v[18:19]
	s_wait_loadcnt 0x0
	v_fma_f64 v[59:60], v[37:38], v[33:34], v[59:60]
	scratch_load_b64 v[33:34], off, off offset:1008 th:TH_LOAD_LU ; 8-byte Folded Reload
	v_fma_f64 v[25:26], v[37:38], v[47:48], v[25:26]
	s_wait_loadcnt 0x0
	s_delay_alu instid0(VALU_DEP_1) | instskip(SKIP_1) | instid1(VALU_DEP_2)
	v_fma_f64 v[25:26], v[33:34], v[57:58], v[25:26]
	v_fma_f64 v[20:21], v[33:34], v[79:80], v[59:60]
	;; [unrolled: 1-line block ×3, first 2 shown]
	s_delay_alu instid0(VALU_DEP_2) | instskip(SKIP_4) | instid1(VALU_DEP_3)
	v_fma_f64 v[20:21], v[12:13], v[39:40], v[20:21]
	scratch_load_b64 v[39:40], off, off offset:176 th:TH_LOAD_LU ; 8-byte Folded Reload
	v_fma_f64 v[16:17], v[10:11], v[81:82], v[25:26]
	v_fma_f64 v[25:26], v[41:42], v[140:141], 0
	;; [unrolled: 1-line block ×4, first 2 shown]
	s_delay_alu instid0(VALU_DEP_3) | instskip(SKIP_1) | instid1(VALU_DEP_4)
	v_fma_f64 v[25:26], v[37:38], v[29:30], v[25:26]
	v_fma_f64 v[29:30], v[41:42], v[106:107], 0
	;; [unrolled: 1-line block ×3, first 2 shown]
	s_delay_alu instid0(VALU_DEP_4) | instskip(NEXT) | instid1(VALU_DEP_4)
	v_fma_f64 v[16:17], v[2:3], v[94:95], v[16:17]
	v_fma_f64 v[25:26], v[33:34], v[73:74], v[25:26]
	s_delay_alu instid0(VALU_DEP_4) | instskip(NEXT) | instid1(VALU_DEP_4)
	v_fma_f64 v[29:30], v[37:38], v[22:23], v[29:30]
	v_fma_f64 v[20:21], v[2:3], v[77:78], v[20:21]
	s_delay_alu instid0(VALU_DEP_3) | instskip(NEXT) | instid1(VALU_DEP_3)
	v_fma_f64 v[25:26], v[12:13], v[6:7], v[25:26]
	v_fma_f64 v[29:30], v[33:34], v[27:28], v[29:30]
	;; [unrolled: 1-line block ×3, first 2 shown]
	s_delay_alu instid0(VALU_DEP_3) | instskip(NEXT) | instid1(VALU_DEP_3)
	v_fma_f64 v[25:26], v[10:11], v[55:56], v[25:26]
	v_fma_f64 v[29:30], v[12:13], v[92:93], v[29:30]
	s_delay_alu instid0(VALU_DEP_3) | instskip(NEXT) | instid1(VALU_DEP_3)
	v_fma_f64 v[27:28], v[37:38], v[172:173], v[27:28]
	v_fma_f64 v[25:26], v[8:9], v[150:151], v[25:26]
	s_delay_alu instid0(VALU_DEP_3) | instskip(NEXT) | instid1(VALU_DEP_3)
	v_fma_f64 v[29:30], v[10:11], v[90:91], v[29:30]
	v_fma_f64 v[27:28], v[33:34], v[180:181], v[27:28]
	s_delay_alu instid0(VALU_DEP_3) | instskip(NEXT) | instid1(VALU_DEP_3)
	v_fma_f64 v[25:26], v[2:3], v[188:189], v[25:26]
	v_fma_f64 v[29:30], v[8:9], v[75:76], v[29:30]
	s_delay_alu instid0(VALU_DEP_3) | instskip(NEXT) | instid1(VALU_DEP_2)
	v_fma_f64 v[27:28], v[12:13], v[190:191], v[27:28]
	v_fma_f64 v[22:23], v[2:3], v[87:88], v[29:30]
	;; [unrolled: 1-line block ×3, first 2 shown]
	s_delay_alu instid0(VALU_DEP_3)
	v_fma_f64 v[27:28], v[10:11], v[146:147], v[27:28]
	s_wait_loadcnt 0x0
	v_fma_f64 v[20:21], v[39:40], v[0:1], v[20:21]
	v_fma_f64 v[16:17], v[39:40], v[158:159], v[16:17]
	;; [unrolled: 1-line block ×7, first 2 shown]
	s_delay_alu instid0(VALU_DEP_3) | instskip(NEXT) | instid1(VALU_DEP_3)
	v_fma_f64 v[29:30], v[33:34], v[164:165], v[29:30]
	v_fma_f64 v[31:32], v[37:38], v[83:84], v[31:32]
	s_delay_alu instid0(VALU_DEP_3) | instskip(NEXT) | instid1(VALU_DEP_3)
	v_fma_f64 v[27:28], v[2:3], v[63:64], v[27:28]
	v_fma_f64 v[29:30], v[12:13], v[168:169], v[29:30]
	;; [unrolled: 3-line block ×4, first 2 shown]
	s_delay_alu instid0(VALU_DEP_2) | instskip(NEXT) | instid1(VALU_DEP_2)
	v_fma_f64 v[29:30], v[8:9], v[128:129], v[29:30]
	v_fma_f64 v[31:32], v[10:11], v[182:183], v[31:32]
	s_delay_alu instid0(VALU_DEP_2) | instskip(NEXT) | instid1(VALU_DEP_2)
	v_fma_f64 v[29:30], v[2:3], v[45:46], v[29:30]
	v_fma_f64 v[31:32], v[8:9], v[112:113], v[31:32]
	;; [unrolled: 3-line block ×3, first 2 shown]
	s_delay_alu instid0(VALU_DEP_1) | instskip(SKIP_1) | instid1(VALU_DEP_1)
	v_fma_f64 v[6:7], v[39:40], v[126:127], v[31:32]
	v_fma_f64 v[31:32], v[41:42], v[67:68], 0
	;; [unrolled: 1-line block ×3, first 2 shown]
	s_delay_alu instid0(VALU_DEP_1) | instskip(NEXT) | instid1(VALU_DEP_1)
	v_fma_f64 v[31:32], v[33:34], v[104:105], v[31:32]
	v_fma_f64 v[31:32], v[12:13], v[114:115], v[31:32]
	s_delay_alu instid0(VALU_DEP_1) | instskip(NEXT) | instid1(VALU_DEP_1)
	v_fma_f64 v[31:32], v[10:11], v[116:117], v[31:32]
	v_fma_f64 v[31:32], v[8:9], v[100:101], v[31:32]
	s_delay_alu instid0(VALU_DEP_1)
	v_fma_f64 v[31:32], v[2:3], v[102:103], v[31:32]
	s_clause 0x1
	scratch_load_b128 v[0:3], off, off offset:1768
	scratch_load_b64 v[4:5], off, off offset:1472 th:TH_LOAD_LU
	v_fma_f64 v[100:101], v[39:40], v[35:36], v[31:32]
	s_wait_loadcnt 0x0
	v_add_f64_e32 v[92:93], v[0:1], v[4:5]
	scratch_load_b64 v[0:1], off, off offset:976 th:TH_LOAD_LU ; 8-byte Folded Reload
	s_wait_loadcnt 0x0
	v_add_f64_e32 v[94:95], v[2:3], v[0:1]
	s_clause 0x1
	scratch_load_b128 v[0:3], off, off offset:1752
	scratch_load_b64 v[4:5], off, off offset:952 th:TH_LOAD_LU
	s_wait_loadcnt 0x0
	v_add_f64_e32 v[76:77], v[0:1], v[4:5]
	scratch_load_b64 v[0:1], off, off offset:544 th:TH_LOAD_LU ; 8-byte Folded Reload
	s_wait_loadcnt 0x0
	v_add_f64_e32 v[78:79], v[2:3], v[0:1]
	scratch_load_b128 v[0:3], off, off offset:1736 ; 16-byte Folded Reload
	s_wait_loadcnt 0x0
	v_add_f64_e32 v[60:61], v[0:1], v[154:155]
	v_add_f64_e32 v[62:63], v[2:3], v[124:125]
	scratch_load_b128 v[0:3], off, off offset:1720 ; 16-byte Folded Reload
	s_wait_loadcnt 0x0
	v_add_f64_e32 v[44:45], v[0:1], v[51:52]
	v_add_f64_e32 v[46:47], v[2:3], v[20:21]
	s_clause 0x1
	scratch_load_b128 v[0:3], off, off offset:1832
	scratch_load_b64 v[4:5], off, off offset:1504 th:TH_LOAD_LU
	s_wait_loadcnt 0x0
	v_add_f64_e32 v[88:89], v[0:1], v[4:5]
	scratch_load_b64 v[0:1], off, off offset:984 th:TH_LOAD_LU ; 8-byte Folded Reload
	s_wait_loadcnt 0x0
	v_add_f64_e32 v[90:91], v[2:3], v[0:1]
	s_clause 0x1
	scratch_load_b128 v[0:3], off, off offset:1816
	scratch_load_b64 v[4:5], off, off offset:960 th:TH_LOAD_LU
	s_wait_loadcnt 0x0
	v_add_f64_e32 v[72:73], v[0:1], v[4:5]
	scratch_load_b64 v[0:1], off, off offset:920 th:TH_LOAD_LU ; 8-byte Folded Reload
	s_wait_loadcnt 0x0
	v_add_f64_e32 v[74:75], v[2:3], v[0:1]
	scratch_load_b128 v[0:3], off, off offset:1800 ; 16-byte Folded Reload
	s_wait_loadcnt 0x0
	v_add_f64_e32 v[56:57], v[0:1], v[144:145]
	v_add_f64_e32 v[58:59], v[2:3], v[122:123]
	scratch_load_b128 v[0:3], off, off offset:1784 ; 16-byte Folded Reload
	s_wait_loadcnt 0x0
	v_add_f64_e32 v[36:37], v[0:1], v[49:50]
	v_add_f64_e32 v[38:39], v[2:3], v[16:17]
	s_clause 0x1
	scratch_load_b128 v[0:3], off, off offset:1896
	scratch_load_b64 v[4:5], off, off offset:1512 th:TH_LOAD_LU
	s_wait_loadcnt 0x0
	v_add_f64_e32 v[84:85], v[0:1], v[4:5]
	scratch_load_b64 v[0:1], off, off offset:992 th:TH_LOAD_LU ; 8-byte Folded Reload
	s_wait_loadcnt 0x0
	v_add_f64_e32 v[86:87], v[2:3], v[0:1]
	s_clause 0x1
	scratch_load_b128 v[0:3], off, off offset:1880
	scratch_load_b64 v[4:5], off, off offset:968 th:TH_LOAD_LU
	s_wait_loadcnt 0x0
	v_add_f64_e32 v[68:69], v[0:1], v[4:5]
	scratch_load_b64 v[0:1], off, off offset:928 th:TH_LOAD_LU ; 8-byte Folded Reload
	s_wait_loadcnt 0x0
	v_add_f64_e32 v[70:71], v[2:3], v[0:1]
	s_clause 0x1
	scratch_load_b128 v[0:3], off, off offset:1864
	scratch_load_b64 v[4:5], off, off offset:512 th:TH_LOAD_LU
	s_wait_loadcnt 0x1
	v_add_f64_e32 v[54:55], v[2:3], v[178:179]
	s_wait_loadcnt 0x0
	v_add_f64_e32 v[52:53], v[0:1], v[4:5]
	scratch_load_b128 v[0:3], off, off offset:1848 ; 16-byte Folded Reload
	s_wait_loadcnt 0x0
	v_add_f64_e32 v[40:41], v[0:1], v[65:66]
	v_add_f64_e32 v[42:43], v[2:3], v[25:26]
	s_clause 0x1
	scratch_load_b128 v[0:3], off, off offset:1960
	scratch_load_b64 v[4:5], off, off offset:1488 th:TH_LOAD_LU
	s_wait_loadcnt 0x0
	v_add_f64_e32 v[80:81], v[0:1], v[4:5]
	scratch_load_b64 v[0:1], off, off offset:1000 th:TH_LOAD_LU ; 8-byte Folded Reload
	s_wait_loadcnt 0x0
	v_add_f64_e32 v[82:83], v[2:3], v[0:1]
	s_clause 0x1
	scratch_load_b128 v[0:3], off, off offset:1944
	scratch_load_b64 v[4:5], off, off offset:1560 th:TH_LOAD_LU
	s_wait_loadcnt 0x0
	v_add_f64_e32 v[64:65], v[0:1], v[4:5]
	scratch_load_b64 v[0:1], off, off offset:936 th:TH_LOAD_LU ; 8-byte Folded Reload
	s_wait_loadcnt 0x0
	v_add_f64_e32 v[66:67], v[2:3], v[0:1]
	scratch_load_b128 v[0:3], off, off offset:1928 ; 16-byte Folded Reload
	s_wait_loadcnt 0x0
	v_add_f64_e32 v[48:49], v[0:1], v[138:139]
	v_add_f64_e32 v[50:51], v[2:3], v[120:121]
	scratch_load_b128 v[0:3], off, off offset:1912 ; 16-byte Folded Reload
	s_wait_loadcnt 0x0
	v_add_f64_e32 v[32:33], v[0:1], v[134:135]
	v_add_f64_e32 v[34:35], v[2:3], v[22:23]
	s_clause 0x1
	scratch_load_b128 v[0:3], off, off offset:2024
	scratch_load_b64 v[4:5], off, off offset:1520 th:TH_LOAD_LU
	s_wait_loadcnt 0x0
	v_add_f64_e32 v[0:1], v[0:1], v[4:5]
	scratch_load_b64 v[4:5], off, off offset:1328 th:TH_LOAD_LU ; 8-byte Folded Reload
	s_wait_loadcnt 0x0
	v_add_f64_e32 v[2:3], v[2:3], v[4:5]
	scratch_store_b128 off, v[0:3], off offset:528 ; 16-byte Folded Spill
	s_clause 0x1
	scratch_load_b128 v[0:3], off, off offset:2008
	scratch_load_b64 v[4:5], off, off offset:1552 th:TH_LOAD_LU
	s_wait_loadcnt 0x0
	v_add_f64_e32 v[0:1], v[0:1], v[4:5]
	scratch_load_b64 v[4:5], off, off offset:1584 th:TH_LOAD_LU ; 8-byte Folded Reload
	s_wait_loadcnt 0x0
	v_add_f64_e32 v[2:3], v[2:3], v[4:5]
	scratch_store_b128 off, v[0:3], off offset:496 ; 16-byte Folded Spill
	scratch_load_b128 v[0:3], off, off offset:1992 ; 16-byte Folded Reload
	s_wait_loadcnt 0x0
	v_add_f64_e32 v[172:173], v[0:1], v[132:133]
	v_add_f64_e32 v[174:175], v[2:3], v[166:167]
	scratch_load_b128 v[0:3], off, off offset:1976 ; 16-byte Folded Reload
	s_wait_loadcnt 0x0
	v_add_f64_e32 v[166:167], v[0:1], v[176:177]
	v_add_f64_e32 v[168:169], v[2:3], v[27:28]
	s_clause 0x1
	scratch_load_b128 v[0:3], off, off offset:2088
	scratch_load_b64 v[4:5], off, off offset:1528 th:TH_LOAD_LU
	s_wait_loadcnt 0x0
	v_add_f64_e32 v[0:1], v[0:1], v[4:5]
	scratch_load_b64 v[4:5], off, off offset:1536 th:TH_LOAD_LU ; 8-byte Folded Reload
	s_wait_loadcnt 0x0
	v_add_f64_e32 v[2:3], v[2:3], v[4:5]
	scratch_store_b128 off, v[0:3], off offset:512 ; 16-byte Folded Spill
	s_clause 0x1
	scratch_load_b128 v[0:3], off, off offset:2072
	scratch_load_b64 v[4:5], off, off offset:1568 th:TH_LOAD_LU
	s_wait_loadcnt 0x0
	v_add_f64_e32 v[180:181], v[0:1], v[4:5]
	scratch_load_b64 v[0:1], off, off offset:1600 th:TH_LOAD_LU ; 8-byte Folded Reload
	s_wait_loadcnt 0x0
	v_add_f64_e32 v[182:183], v[2:3], v[0:1]
	scratch_load_b128 v[0:3], off, off offset:2056 ; 16-byte Folded Reload
	s_wait_loadcnt 0x0
	v_add_f64_e32 v[176:177], v[0:1], v[130:131]
	v_add_f64_e32 v[178:179], v[2:3], v[170:171]
	scratch_load_b128 v[0:3], off, off offset:2040 ; 16-byte Folded Reload
	s_wait_loadcnt 0x0
	v_add_f64_e32 v[108:109], v[0:1], v[118:119]
	v_add_f64_e32 v[110:111], v[2:3], v[29:30]
	s_clause 0x1
	scratch_load_b128 v[0:3], off, off offset:2152
	scratch_load_b64 v[4:5], off, off offset:1480 th:TH_LOAD_LU
	s_wait_loadcnt 0x0
	v_add_f64_e32 v[130:131], v[0:1], v[4:5]
	scratch_load_b64 v[0:1], off, off offset:1544 th:TH_LOAD_LU ; 8-byte Folded Reload
	s_wait_loadcnt 0x0
	v_add_f64_e32 v[132:133], v[2:3], v[0:1]
	s_clause 0x1
	scratch_load_b128 v[0:3], off, off offset:2136
	scratch_load_b64 v[4:5], off, off offset:1576 th:TH_LOAD_LU
	s_wait_loadcnt 0x0
	v_add_f64_e32 v[134:135], v[0:1], v[4:5]
	scratch_load_b64 v[0:1], off, off offset:1608 th:TH_LOAD_LU ; 8-byte Folded Reload
	s_wait_loadcnt 0x0
	v_add_f64_e32 v[136:137], v[2:3], v[0:1]
	s_clause 0x1
	scratch_load_b128 v[0:3], off, off offset:2120
	scratch_load_b64 v[4:5], off, off offset:904 th:TH_LOAD_LU
	s_wait_loadcnt 0x0
	v_add_f64_e32 v[104:105], v[0:1], v[4:5]
	scratch_load_b64 v[0:1], off, off offset:872 th:TH_LOAD_LU ; 8-byte Folded Reload
	s_wait_loadcnt 0x0
	v_add_f64_e32 v[106:107], v[2:3], v[0:1]
	scratch_load_b128 v[0:3], off, off offset:2104 ; 16-byte Folded Reload
	s_wait_loadcnt 0x0
	v_add_f64_e32 v[4:5], v[0:1], v[18:19]
	v_add_f64_e32 v[6:7], v[2:3], v[6:7]
	scratch_load_b128 v[0:3], off, off offset:2216 ; 16-byte Folded Reload
	s_wait_loadcnt 0x0
	v_add_f64_e32 v[138:139], v[0:1], v[162:163]
	scratch_load_b64 v[0:1], off, off offset:944 th:TH_LOAD_LU ; 8-byte Folded Reload
	s_wait_loadcnt 0x0
	v_add_f64_e32 v[140:141], v[2:3], v[0:1]
	s_clause 0x1
	scratch_load_b128 v[0:3], off, off offset:2200
	scratch_load_b64 v[8:9], off, off offset:1592 th:TH_LOAD_LU
	s_wait_loadcnt 0x0
	v_add_f64_e32 v[112:113], v[0:1], v[8:9]
	scratch_load_b64 v[0:1], off, off offset:896 th:TH_LOAD_LU ; 8-byte Folded Reload
	s_wait_loadcnt 0x0
	v_add_f64_e32 v[114:115], v[2:3], v[0:1]
	s_clause 0x3
	scratch_load_b128 v[0:3], off, off offset:2184
	scratch_load_b64 v[8:9], off, off offset:864 th:TH_LOAD_LU
	scratch_load_b64 v[20:21], off, off offset:1360 th:TH_LOAD_LU
	;; [unrolled: 1-line block ×3, first 2 shown]
	s_wait_loadcnt 0x2
	v_add_f64_e32 v[0:1], v[0:1], v[8:9]
	scratch_load_b64 v[8:9], off, off offset:848 th:TH_LOAD_LU ; 8-byte Folded Reload
	s_wait_loadcnt 0x0
	v_add_f64_e32 v[2:3], v[2:3], v[8:9]
	scratch_store_b128 off, v[0:3], off offset:176 ; 16-byte Folded Spill
	scratch_load_b128 v[0:3], off, off offset:2168 ; 16-byte Folded Reload
	s_wait_loadcnt 0x0
	v_add_f64_e32 v[12:13], v[0:1], v[14:15]
	v_add_f64_e32 v[14:15], v[2:3], v[100:101]
	scratch_load_b64 v[2:3], off, off offset:1352 th:TH_LOAD_LU ; 8-byte Folded Reload
	s_wait_loadcnt 0x0
	v_add_co_u32 v2, vcc_lo, v2, 8
	s_wait_alu 0xfffd
	v_add_co_ci_u32_e64 v3, null, 0, v3, vcc_lo
	v_add_co_u32 v20, vcc_lo, v20, 8
	s_wait_alu 0xfffd
	v_add_co_ci_u32_e64 v21, null, 0, v21, vcc_lo
	;; [unrolled: 3-line block ×3, first 2 shown]
	s_cbranch_scc1 .LBB0_35
; %bb.33:                               ;   in Loop: Header=BB0_21 Depth=1
	s_clause 0x7
	scratch_load_b128 v[122:125], off, off offset:16
	scratch_load_b128 v[118:121], off, off offset:32
	;; [unrolled: 1-line block ×8, first 2 shown]
	v_dual_mov_b32 v8, v184 :: v_dual_mov_b32 v9, v185
	v_dual_mov_b32 v149, v15 :: v_dual_mov_b32 v148, v14
	;; [unrolled: 1-line block ×4, first 2 shown]
	s_branch .LBB0_21
.LBB0_34:                               ;   in Loop: Header=BB0_21 Depth=1
                                        ; implicit-def: $vgpr30_vgpr31
	s_branch .LBB0_23
.LBB0_35:
	scratch_store_b128 off, v[4:7], off offset:368 ; 16-byte Folded Spill
	s_clause 0x9
	scratch_load_b128 v[122:125], off, off offset:16
	scratch_load_b128 v[118:121], off, off offset:32
	;; [unrolled: 1-line block ×8, first 2 shown]
	scratch_load_b64 v[17:18], off, off offset:2248
	scratch_load_b128 v[126:129], off, off offset:128
	scratch_store_b128 off, v[12:15], off offset:616 ; 16-byte Folded Spill
.LBB0_36:
	scratch_load_b64 v[0:1], off, off offset:2232 th:TH_LOAD_LU ; 8-byte Folded Reload
	s_wait_loadcnt 0x2
	v_add_co_u32 v16, vcc_lo, s10, v17
	s_wait_alu 0xfffd
	v_add_co_ci_u32_e64 v17, null, s11, v18, vcc_lo
	s_cmp_lt_i32 s3, 1
	s_wait_loadcnt 0x0
	global_store_b64 v[16:17], v[0:1], off
	scratch_load_b64 v[0:1], off, off offset:2240 ; 8-byte Folded Reload
	s_cbranch_scc1 .LBB0_48
; %bb.37:
	s_wait_loadcnt 0x0
	v_mul_lo_u32 v16, v0, s3
	s_clause 0x1
	s_load_b32 s4, s[0:1], 0x78
	s_load_b64 s[0:1], s[0:1], 0x80
	s_cmp_lg_u32 s3, 0
	s_delay_alu instid0(VALU_DEP_1) | instskip(NEXT) | instid1(VALU_DEP_1)
	v_ashrrev_i32_e32 v17, 31, v16
	v_lshlrev_b64_e32 v[16:17], 3, v[16:17]
	s_delay_alu instid0(VALU_DEP_1) | instskip(SKIP_1) | instid1(VALU_DEP_2)
	v_add_co_u32 v0, vcc_lo, s8, v16
	s_wait_alu 0xfffd
	v_add_co_ci_u32_e64 v1, null, s9, v17, vcc_lo
	s_cselect_b32 vcc_lo, -1, 0
	s_wait_kmcnt 0x0
	v_add_co_u32 v116, s0, s0, v16
	s_bitcmp1_b32 s4, 0
	v_add_co_ci_u32_e64 v117, null, s1, v17, s0
	s_wait_alu 0xfffe
	v_dual_cndmask_b32 v171, 0, v1 :: v_dual_cndmask_b32 v170, 0, v0
	s_cselect_b32 s0, -1, 0
	s_cmp_lg_u32 s2, 0
	s_cselect_b32 s1, -1, 0
	s_lshl_b32 s2, s2, 1
	s_branch .LBB0_40
.LBB0_38:                               ;   in Loop: Header=BB0_40 Depth=1
	scratch_load_b128 v[12:15], off, off offset:288 ; 16-byte Folded Reload
	v_dual_mov_b32 v184, v188 :: v_dual_mov_b32 v185, v189
	v_dual_mov_b32 v186, v190 :: v_dual_mov_b32 v187, v191
.LBB0_39:                               ;   in Loop: Header=BB0_40 Depth=1
	s_wait_loadcnt 0x1
	s_clause 0x6
	scratch_load_b128 v[0:3], off, off offset:160
	scratch_load_b128 v[20:23], off, off offset:416
	;; [unrolled: 1-line block ×5, first 2 shown]
	scratch_load_b128 v[28:31], off, off
	scratch_load_b128 v[122:125], off, off offset:16
	v_dual_mov_b32 v191, v187 :: v_dual_mov_b32 v190, v186
	v_dual_mov_b32 v189, v185 :: v_dual_mov_b32 v188, v184
	s_mov_b32 m0, s2
	v_add_co_u32 v116, vcc_lo, v116, 8
	s_wait_alu 0xfffd
	v_add_co_ci_u32_e64 v117, null, 0, v117, vcc_lo
	s_wait_loadcnt 0x7
	v_add_co_u32 v170, vcc_lo, v170, 8
	s_wait_alu 0xfffd
	v_add_co_ci_u32_e64 v171, null, 0, v171, vcc_lo
	s_add_co_i32 s3, s3, -1
	scratch_load_b128 v[118:121], off, off offset:32 ; 16-byte Folded Reload
	s_wait_alu 0xfffe
	s_cmp_lg_u32 s3, 0
	s_clause 0x3
	scratch_load_b128 v[24:27], off, off offset:448
	scratch_load_b128 v[100:103], off, off offset:712
	;; [unrolled: 1-line block ×4, first 2 shown]
	s_wait_loadcnt 0xb
	v_fma_f64 v[0:1], v[0:1], v[150:151], 0
	v_fma_f64 v[2:3], v[150:151], v[2:3], 0
	s_wait_loadcnt 0x9
	s_delay_alu instid0(VALU_DEP_2) | instskip(NEXT) | instid1(VALU_DEP_2)
	v_fma_f64 v[0:1], v[4:5], v[152:153], v[0:1]
	v_fma_f64 v[2:3], v[152:153], v[6:7], v[2:3]
	scratch_load_b128 v[4:7], off, off offset:48 ; 16-byte Folded Reload
	s_wait_loadcnt 0x0
	v_fma_f64 v[0:1], v[4:5], v[154:155], v[0:1]
	v_fma_f64 v[2:3], v[154:155], v[6:7], v[2:3]
	scratch_load_b128 v[4:7], off, off offset:304 ; 16-byte Folded Reload
	s_wait_loadcnt 0x0
	v_fma_f64 v[0:1], v[4:5], v[156:157], v[0:1]
	v_fma_f64 v[2:3], v[156:157], v[6:7], v[2:3]
	scratch_load_b128 v[4:7], off, off offset:352 ; 16-byte Folded Reload
	v_fma_f64 v[0:1], v[142:143], v[158:159], v[0:1]
	v_fma_f64 v[2:3], v[158:159], v[144:145], v[2:3]
	s_wait_loadcnt 0x0
	s_delay_alu instid0(VALU_DEP_2) | instskip(NEXT) | instid1(VALU_DEP_2)
	v_fma_f64 v[0:1], v[4:5], v[160:161], v[0:1]
	v_fma_f64 v[2:3], v[160:161], v[6:7], v[2:3]
	scratch_load_b128 v[4:7], off, off offset:464 ; 16-byte Folded Reload
	s_wait_loadcnt 0x0
	v_fma_f64 v[0:1], v[4:5], v[162:163], v[0:1]
	v_fma_f64 v[2:3], v[162:163], v[6:7], v[2:3]
	scratch_load_b128 v[4:7], off, off offset:480 ; 16-byte Folded Reload
	s_wait_loadcnt 0x0
	v_fma_f64 v[16:17], v[4:5], v[164:165], v[0:1]
	v_fma_f64 v[18:19], v[164:165], v[6:7], v[2:3]
	s_clause 0x1
	scratch_load_b128 v[2:5], off, off offset:400
	scratch_load_b128 v[6:9], off, off offset:96
	v_fma_f64 v[0:1], v[150:151], v[126:127], 0
	s_delay_alu instid0(VALU_DEP_1) | instskip(SKIP_1) | instid1(VALU_DEP_1)
	v_fma_f64 v[0:1], v[152:153], v[118:119], v[0:1]
	s_wait_loadcnt 0x1
	v_fma_f64 v[0:1], v[154:155], v[2:3], v[0:1]
	s_wait_loadcnt 0x0
	s_delay_alu instid0(VALU_DEP_1) | instskip(NEXT) | instid1(VALU_DEP_1)
	v_fma_f64 v[0:1], v[156:157], v[6:7], v[0:1]
	v_fma_f64 v[0:1], v[158:159], v[20:21], v[0:1]
	s_delay_alu instid0(VALU_DEP_1) | instskip(NEXT) | instid1(VALU_DEP_1)
	v_fma_f64 v[0:1], v[160:161], v[188:189], v[0:1]
	v_fma_f64 v[0:1], v[162:163], v[24:25], v[0:1]
	s_delay_alu instid0(VALU_DEP_1) | instskip(SKIP_1) | instid1(VALU_DEP_1)
	v_fma_f64 v[20:21], v[164:165], v[28:29], v[0:1]
	v_fma_f64 v[0:1], v[150:151], v[128:129], 0
	;; [unrolled: 1-line block ×3, first 2 shown]
	s_delay_alu instid0(VALU_DEP_1) | instskip(SKIP_2) | instid1(VALU_DEP_1)
	v_fma_f64 v[0:1], v[154:155], v[4:5], v[0:1]
	scratch_load_b128 v[4:7], off, off offset:272 ; 16-byte Folded Reload
	v_fma_f64 v[0:1], v[156:157], v[8:9], v[0:1]
	v_fma_f64 v[0:1], v[158:159], v[22:23], v[0:1]
	s_delay_alu instid0(VALU_DEP_1) | instskip(NEXT) | instid1(VALU_DEP_1)
	v_fma_f64 v[0:1], v[160:161], v[190:191], v[0:1]
	v_fma_f64 v[0:1], v[162:163], v[26:27], v[0:1]
	scratch_load_b128 v[24:27], off, off offset:728 ; 16-byte Folded Reload
	v_fma_f64 v[22:23], v[164:165], v[30:31], v[0:1]
	s_clause 0x1
	scratch_load_b128 v[0:3], off, off offset:144
	scratch_load_b128 v[28:31], off, off offset:648
	s_wait_loadcnt 0x1
	v_fma_f64 v[0:1], v[150:151], v[0:1], 0
	s_delay_alu instid0(VALU_DEP_1) | instskip(NEXT) | instid1(VALU_DEP_1)
	v_fma_f64 v[0:1], v[152:153], v[122:123], v[0:1]
	v_fma_f64 v[0:1], v[154:155], v[4:5], v[0:1]
	s_delay_alu instid0(VALU_DEP_1) | instskip(SKIP_4) | instid1(VALU_DEP_1)
	v_fma_f64 v[0:1], v[156:157], v[12:13], v[0:1]
	scratch_load_b128 v[10:13], off, off offset:432 ; 16-byte Folded Reload
	s_wait_loadcnt 0x1
	v_fma_f64 v[0:1], v[158:159], v[28:29], v[0:1]
	s_wait_loadcnt 0x0
	v_fma_f64 v[0:1], v[160:161], v[10:11], v[0:1]
	scratch_load_b128 v[8:11], off, off offset:696 ; 16-byte Folded Reload
	s_wait_loadcnt 0x0
	v_fma_f64 v[0:1], v[162:163], v[8:9], v[0:1]
	s_delay_alu instid0(VALU_DEP_1) | instskip(SKIP_1) | instid1(VALU_DEP_1)
	v_fma_f64 v[24:25], v[164:165], v[24:25], v[0:1]
	v_fma_f64 v[0:1], v[150:151], v[2:3], 0
	;; [unrolled: 1-line block ×3, first 2 shown]
	s_delay_alu instid0(VALU_DEP_1) | instskip(SKIP_2) | instid1(VALU_DEP_1)
	v_fma_f64 v[0:1], v[154:155], v[6:7], v[0:1]
	scratch_load_b128 v[4:7], off, off offset:256 ; 16-byte Folded Reload
	v_fma_f64 v[0:1], v[156:157], v[14:15], v[0:1]
	v_fma_f64 v[0:1], v[158:159], v[30:31], v[0:1]
	scratch_load_b128 v[28:31], off, off offset:336 ; 16-byte Folded Reload
	v_fma_f64 v[0:1], v[160:161], v[12:13], v[0:1]
	scratch_load_b128 v[12:15], off, off offset:112 ; 16-byte Folded Reload
	;; [unrolled: 2-line block ×4, first 2 shown]
	s_wait_loadcnt 0x0
	v_fma_f64 v[0:1], v[150:151], v[0:1], 0
	s_delay_alu instid0(VALU_DEP_1) | instskip(NEXT) | instid1(VALU_DEP_1)
	v_fma_f64 v[0:1], v[152:153], v[146:147], v[0:1]
	v_fma_f64 v[0:1], v[154:155], v[4:5], v[0:1]
	s_delay_alu instid0(VALU_DEP_1) | instskip(NEXT) | instid1(VALU_DEP_1)
	v_fma_f64 v[0:1], v[156:157], v[12:13], v[0:1]
	;; [unrolled: 3-line block ×3, first 2 shown]
	v_fma_f64 v[0:1], v[162:163], v[96:97], v[0:1]
	s_delay_alu instid0(VALU_DEP_1) | instskip(SKIP_3) | instid1(VALU_DEP_1)
	v_fma_f64 v[28:29], v[164:165], v[100:101], v[0:1]
	v_fma_f64 v[0:1], v[150:151], v[2:3], 0
	scratch_load_b64 v[2:3], off, off offset:1344 ; 8-byte Folded Reload
	v_fma_f64 v[0:1], v[152:153], v[148:149], v[0:1]
	v_fma_f64 v[0:1], v[154:155], v[6:7], v[0:1]
	s_delay_alu instid0(VALU_DEP_1) | instskip(NEXT) | instid1(VALU_DEP_1)
	v_fma_f64 v[0:1], v[156:157], v[14:15], v[0:1]
	v_fma_f64 v[0:1], v[158:159], v[10:11], v[0:1]
	s_delay_alu instid0(VALU_DEP_1) | instskip(NEXT) | instid1(VALU_DEP_1)
	v_fma_f64 v[0:1], v[160:161], v[30:31], v[0:1]
	v_fma_f64 v[0:1], v[162:163], v[98:99], v[0:1]
	s_delay_alu instid0(VALU_DEP_1) | instskip(SKIP_3) | instid1(VALU_DEP_1)
	v_fma_f64 v[30:31], v[164:165], v[102:103], v[0:1]
	v_movrels_b32_e32 v1, v17
	v_movrels_b32_e32 v0, v16
	s_wait_loadcnt 0x0
	v_add_f64_e32 v[0:1], v[2:3], v[0:1]
	s_delay_alu instid0(VALU_DEP_1) | instskip(NEXT) | instid1(VALU_DEP_2)
	v_movreld_b32_e32 v16, v0
	v_movreld_b32_e32 v17, v1
	v_dual_mov_b32 v165, v31 :: v_dual_mov_b32 v164, v30
	v_dual_mov_b32 v163, v29 :: v_dual_mov_b32 v162, v28
	;; [unrolled: 1-line block ×8, first 2 shown]
	s_cbranch_scc0 .LBB0_48
.LBB0_40:                               ; =>This Inner Loop Header: Depth=1
	s_wait_alu 0xfffe
	s_and_not1_b32 vcc_lo, exec_lo, s1
	s_wait_alu 0xfffe
	s_cbranch_vccnz .LBB0_47
; %bb.41:                               ;   in Loop: Header=BB0_40 Depth=1
	scratch_load_b64 v[0:1], off, off offset:560 ; 8-byte Folded Reload
	s_wait_loadcnt 0x0
	v_fma_f64 v[16:17], v[150:151], v[0:1], 0
	scratch_load_b64 v[0:1], off, off offset:552 ; 8-byte Folded Reload
	s_wait_loadcnt 0x0
	v_fma_f64 v[16:17], v[152:153], v[0:1], v[16:17]
	;; [unrolled: 3-line block ×8, first 2 shown]
	global_store_b64 v[170:171], v[16:17], off
	s_clause 0x1
	scratch_load_b128 v[4:7], off, off offset:272
	scratch_load_b128 v[0:3], off, off offset:400
	s_cbranch_execnz .LBB0_43
.LBB0_42:                               ;   in Loop: Header=BB0_40 Depth=1
	global_store_b64 v[170:171], v[150:151], off
.LBB0_43:                               ;   in Loop: Header=BB0_40 Depth=1
	s_and_not1_b32 vcc_lo, exec_lo, s0
	s_wait_alu 0xfffe
	s_cbranch_vccnz .LBB0_38
; %bb.44:                               ;   in Loop: Header=BB0_40 Depth=1
	s_clause 0x5
	scratch_store_b64 off, v[170:171], off offset:808
	scratch_store_b64 off, v[116:117], off offset:544
	scratch_store_b128 off, v[150:153], off offset:192
	scratch_store_b128 off, v[154:157], off offset:208
	;; [unrolled: 1-line block ×4, first 2 shown]
	s_clause 0x2
	scratch_load_b128 v[146:149], off, off offset:496
	scratch_load_b128 v[150:153], off, off offset:512
	;; [unrolled: 1-line block ×3, first 2 shown]
	s_wait_loadcnt 0x3
	s_clause 0x2
	scratch_load_b128 v[2:5], off, off offset:368
	scratch_load_b128 v[160:163], off, off offset:176
	;; [unrolled: 1-line block ×3, first 2 shown]
	v_dual_mov_b32 v100, v166 :: v_dual_mov_b32 v101, v167
	v_dual_mov_b32 v96, v130 :: v_dual_mov_b32 v97, v131
	;; [unrolled: 1-line block ×5, first 2 shown]
	s_and_not1_b32 vcc_lo, exec_lo, s1
	s_wait_alu 0xfffe
	s_cbranch_vccnz .LBB0_46
; %bb.45:                               ;   in Loop: Header=BB0_40 Depth=1
	s_clause 0x7
	scratch_load_b64 v[10:11], off, off offset:560
	scratch_load_b64 v[22:23], off, off offset:576
	;; [unrolled: 1-line block ×8, first 2 shown]
	s_wait_loadcnt 0x7
	v_mul_f64_e32 v[16:17], v[92:93], v[10:11]
	v_mul_f64_e32 v[18:19], v[88:89], v[10:11]
	s_delay_alu instid0(VALU_DEP_2) | instskip(SKIP_1) | instid1(VALU_DEP_1)
	v_fma_f64 v[16:17], v[16:17], v[10:11], 0
	s_wait_loadcnt 0x4
	v_fma_f64 v[16:17], v[18:19], v[8:9], v[16:17]
	v_mul_f64_e32 v[18:19], v[84:85], v[10:11]
	s_delay_alu instid0(VALU_DEP_1) | instskip(SKIP_1) | instid1(VALU_DEP_1)
	v_fma_f64 v[16:17], v[18:19], v[22:23], v[16:17]
	v_mul_f64_e32 v[18:19], v[80:81], v[10:11]
	v_fma_f64 v[16:17], v[18:19], v[20:21], v[16:17]
	v_mul_f64_e32 v[18:19], v[12:13], v[10:11]
	s_wait_loadcnt 0x3
	s_delay_alu instid0(VALU_DEP_1) | instskip(SKIP_2) | instid1(VALU_DEP_1)
	v_fma_f64 v[16:17], v[18:19], v[26:27], v[16:17]
	v_mul_f64_e32 v[18:19], v[150:151], v[10:11]
	s_wait_loadcnt 0x0
	v_fma_f64 v[16:17], v[18:19], v[24:25], v[16:17]
	v_mul_f64_e32 v[18:19], v[96:97], v[10:11]
	s_delay_alu instid0(VALU_DEP_1) | instskip(SKIP_1) | instid1(VALU_DEP_1)
	v_fma_f64 v[16:17], v[18:19], v[30:31], v[16:17]
	v_mul_f64_e32 v[18:19], v[138:139], v[10:11]
	v_fma_f64 v[16:17], v[18:19], v[28:29], v[16:17]
	v_mul_f64_e32 v[18:19], v[94:95], v[8:9]
	s_delay_alu instid0(VALU_DEP_1) | instskip(SKIP_1) | instid1(VALU_DEP_1)
	v_fma_f64 v[16:17], v[18:19], v[10:11], v[16:17]
	v_mul_f64_e32 v[18:19], v[90:91], v[8:9]
	;; [unrolled: 5-line block ×29, first 2 shown]
	v_fma_f64 v[0:1], v[18:19], v[28:29], v[16:17]
.LBB0_46:                               ;   in Loop: Header=BB0_40 Depth=1
	s_clause 0x1
	scratch_load_b128 v[6:9], off, off offset:160
	scratch_load_b128 v[184:187], off, off offset:64
	s_clause 0x1
	scratch_store_b64 off, v[0:1], off offset:824
	scratch_store_b128 off, v[176:179], off offset:792
	s_wait_loadcnt 0x4
	scratch_store_b128 off, v[2:5], off offset:368 ; 16-byte Folded Spill
	scratch_load_b128 v[176:179], off, off offset:80 ; 16-byte Folded Reload
	v_fma_f64 v[20:21], v[126:127], v[92:93], 0
	v_fma_f64 v[22:23], v[128:129], v[92:93], 0
	v_dual_mov_b32 v191, v125 :: v_dual_mov_b32 v190, v124
	v_dual_mov_b32 v189, v123 :: v_dual_mov_b32 v188, v122
	;; [unrolled: 1-line block ×4, first 2 shown]
	v_fma_f64 v[100:101], v[126:127], v[88:89], 0
	v_fma_f64 v[102:103], v[128:129], v[88:89], 0
	scratch_load_b128 v[164:167], off, off offset:384 ; 16-byte Folded Reload
	v_fma_f64 v[158:159], v[118:119], v[94:95], v[20:21]
	v_fma_f64 v[22:23], v[120:121], v[94:95], v[22:23]
	;; [unrolled: 1-line block ×4, first 2 shown]
	s_wait_loadcnt 0x3
	v_fma_f64 v[16:17], v[6:7], v[92:93], 0
	v_fma_f64 v[18:19], v[8:9], v[92:93], 0
	s_wait_loadcnt 0x1
	v_fma_f64 v[28:29], v[176:177], v[92:93], 0
	v_fma_f64 v[30:31], v[178:179], v[92:93], 0
	;; [unrolled: 1-line block ×3, first 2 shown]
	s_wait_loadcnt 0x0
	v_dual_mov_b32 v2, v164 :: v_dual_mov_b32 v3, v165
	v_dual_mov_b32 v4, v166 :: v_dual_mov_b32 v5, v167
	v_fma_f64 v[154:155], v[184:185], v[94:95], v[16:17]
	v_fma_f64 v[0:1], v[186:187], v[94:95], v[18:19]
	scratch_load_b128 v[16:19], off, off offset:144 ; 16-byte Folded Reload
	s_clause 0x1
	scratch_store_b128 off, v[134:137], off offset:776
	scratch_store_b128 off, v[104:107], off offset:744
	v_dual_mov_b32 v137, v111 :: v_dual_mov_b32 v136, v110
	v_fma_f64 v[28:29], v[164:165], v[94:95], v[28:29]
	v_fma_f64 v[30:31], v[166:167], v[94:95], v[30:31]
	v_dual_mov_b32 v135, v109 :: v_dual_mov_b32 v134, v108
	v_fma_f64 v[110:111], v[8:9], v[84:85], 0
	v_fma_f64 v[108:109], v[176:177], v[88:89], 0
	s_clause 0x1
	scratch_store_b128 off, v[112:115], off offset:760
	scratch_store_b128 off, v[160:163], off offset:176
	v_fma_f64 v[112:113], v[126:127], v[84:85], 0
	v_fma_f64 v[114:115], v[128:129], v[84:85], 0
	v_dual_mov_b32 v163, v99 :: v_dual_mov_b32 v162, v98
	v_dual_mov_b32 v161, v97 :: v_dual_mov_b32 v160, v96
	v_fma_f64 v[110:111], v[186:187], v[86:87], v[110:111]
	v_fma_f64 v[108:109], v[164:165], v[90:91], v[108:109]
	v_fma_f64 v[112:113], v[118:119], v[86:87], v[112:113]
	v_fma_f64 v[114:115], v[120:121], v[86:87], v[114:115]
	s_wait_loadcnt 0x0
	v_fma_f64 v[24:25], v[16:17], v[92:93], 0
	v_fma_f64 v[26:27], v[18:19], v[92:93], 0
	;; [unrolled: 1-line block ×13, first 2 shown]
	scratch_load_b128 v[8:11], off, off offset:48 ; 16-byte Folded Reload
	v_fma_f64 v[88:89], v[178:179], v[88:89], 0
	v_fma_f64 v[92:93], v[184:185], v[90:91], v[92:93]
	;; [unrolled: 1-line block ×7, first 2 shown]
	v_dual_mov_b32 v169, v121 :: v_dual_mov_b32 v168, v120
	v_fma_f64 v[90:91], v[6:7], v[84:85], 0
	v_dual_mov_b32 v167, v119 :: v_dual_mov_b32 v166, v118
	v_fma_f64 v[118:119], v[18:19], v[84:85], 0
	v_fma_f64 v[120:121], v[176:177], v[84:85], 0
	;; [unrolled: 1-line block ×12, first 2 shown]
	v_dual_mov_b32 v121, v5 :: v_dual_mov_b32 v120, v4
	v_dual_mov_b32 v119, v3 :: v_dual_mov_b32 v118, v2
	v_fma_f64 v[18:19], v[190:191], v[82:83], v[18:19]
	s_clause 0x1
	scratch_load_b128 v[188:191], off, off offset:112
	scratch_load_b128 v[176:179], off, off offset:400
	v_fma_f64 v[20:21], v[118:119], v[82:83], v[20:21]
	v_fma_f64 v[86:87], v[184:185], v[82:83], v[86:87]
	;; [unrolled: 1-line block ×5, first 2 shown]
	scratch_load_b128 v[118:121], off, off offset:288 ; 16-byte Folded Reload
	s_wait_loadcnt 0x3
	v_fma_f64 v[82:83], v[8:9], v[76:77], v[154:155]
	v_dual_mov_b32 v157, v11 :: v_dual_mov_b32 v156, v10
	v_fma_f64 v[96:97], v[10:11], v[76:77], v[0:1]
	v_dual_mov_b32 v155, v9 :: v_dual_mov_b32 v154, v8
	scratch_load_b128 v[8:11], off, off offset:272 ; 16-byte Folded Reload
	s_wait_loadcnt 0x0
	v_dual_mov_b32 v0, v8 :: v_dual_mov_b32 v1, v9
	v_fma_f64 v[24:25], v[8:9], v[76:77], v[24:25]
	v_fma_f64 v[26:27], v[10:11], v[76:77], v[26:27]
	v_dual_mov_b32 v2, v10 :: v_dual_mov_b32 v3, v11
	scratch_load_b128 v[8:11], off, off offset:256 ; 16-byte Folded Reload
	v_fma_f64 v[98:99], v[176:177], v[76:77], v[158:159]
	v_fma_f64 v[22:23], v[178:179], v[76:77], v[22:23]
	;; [unrolled: 1-line block ×6, first 2 shown]
	s_delay_alu instid0(VALU_DEP_4) | instskip(NEXT) | instid1(VALU_DEP_4)
	v_fma_f64 v[16:17], v[118:119], v[66:67], v[16:17]
	v_fma_f64 v[18:19], v[120:121], v[66:67], v[18:19]
	s_wait_loadcnt 0x0
	v_dual_mov_b32 v4, v8 :: v_dual_mov_b32 v5, v9
	v_fma_f64 v[28:29], v[8:9], v[76:77], v[28:29]
	v_fma_f64 v[30:31], v[10:11], v[76:77], v[30:31]
	v_dual_mov_b32 v6, v10 :: v_dual_mov_b32 v7, v11
	scratch_load_b128 v[8:11], off, off offset:304 ; 16-byte Folded Reload
	v_fma_f64 v[20:21], v[4:5], v[64:65], v[20:21]
	v_fma_f64 v[28:29], v[188:189], v[78:79], v[28:29]
	;; [unrolled: 1-line block ×3, first 2 shown]
	s_delay_alu instid0(VALU_DEP_3)
	v_fma_f64 v[20:21], v[188:189], v[66:67], v[20:21]
	s_wait_loadcnt 0x0
	v_dual_mov_b32 v187, v11 :: v_dual_mov_b32 v186, v10
	v_fma_f64 v[76:77], v[8:9], v[78:79], v[82:83]
	v_fma_f64 v[82:83], v[10:11], v[78:79], v[96:97]
	v_dual_mov_b32 v185, v9 :: v_dual_mov_b32 v184, v8
	scratch_load_b128 v[8:11], off, off offset:96 ; 16-byte Folded Reload
	s_wait_loadcnt 0x0
	v_fma_f64 v[96:97], v[8:9], v[78:79], v[98:99]
	v_fma_f64 v[22:23], v[10:11], v[78:79], v[22:23]
	;; [unrolled: 1-line block ×10, first 2 shown]
	v_dual_mov_b32 v169, v11 :: v_dual_mov_b32 v168, v10
	v_dual_mov_b32 v167, v9 :: v_dual_mov_b32 v166, v8
	v_fma_f64 v[106:107], v[178:179], v[68:69], v[114:115]
	v_fma_f64 v[108:109], v[0:1], v[68:69], v[116:117]
	;; [unrolled: 1-line block ×3, first 2 shown]
	scratch_load_b128 v[126:129], off, off offset:632 ; 16-byte Folded Reload
	v_fma_f64 v[78:79], v[184:185], v[74:75], v[78:79]
	v_fma_f64 v[88:89], v[186:187], v[74:75], v[92:93]
	;; [unrolled: 1-line block ×16, first 2 shown]
	scratch_load_b128 v[0:3], off, off offset:352 ; 16-byte Folded Reload
	v_fma_f64 v[74:75], v[184:185], v[70:71], v[74:75]
	v_fma_f64 v[84:85], v[186:187], v[70:71], v[90:91]
	;; [unrolled: 1-line block ×9, first 2 shown]
	v_dual_mov_b32 v122, v142 :: v_dual_mov_b32 v123, v143
	scratch_load_b128 v[108:111], off, off offset:416 ; 16-byte Folded Reload
	v_dual_mov_b32 v124, v144 :: v_dual_mov_b32 v125, v145
	s_clause 0x1
	scratch_load_b128 v[142:145], off, off offset:648
	scratch_load_b128 v[102:105], off, off offset:320
	v_fma_f64 v[64:65], v[6:7], v[64:65], v[80:81]
	scratch_load_b128 v[4:7], off, off offset:336 ; 16-byte Folded Reload
	v_fma_f64 v[70:71], v[184:185], v[66:67], v[70:71]
	v_fma_f64 v[80:81], v[186:187], v[66:67], v[86:87]
	;; [unrolled: 1-line block ×4, first 2 shown]
	s_clause 0x1
	scratch_load_b128 v[184:187], off, off offset:664
	scratch_load_b128 v[166:169], off, off offset:432
	v_fma_f64 v[8:9], v[190:191], v[66:67], v[64:65]
	s_wait_loadcnt 0x7
	v_fma_f64 v[66:67], v[126:127], v[60:61], v[76:77]
	v_fma_f64 v[76:77], v[128:129], v[60:61], v[82:83]
	s_wait_loadcnt 0x6
	s_delay_alu instid0(VALU_DEP_1)
	v_fma_f64 v[10:11], v[2:3], v[62:63], v[76:77]
	s_wait_loadcnt 0x5
	v_fma_f64 v[82:83], v[108:109], v[60:61], v[96:97]
	v_fma_f64 v[22:23], v[110:111], v[60:61], v[22:23]
	s_wait_loadcnt 0x4
	v_fma_f64 v[24:25], v[142:143], v[60:61], v[24:25]
	;; [unrolled: 3-line block ×3, first 2 shown]
	v_fma_f64 v[30:31], v[104:105], v[60:61], v[30:31]
	v_fma_f64 v[60:61], v[0:1], v[62:63], v[66:67]
	;; [unrolled: 1-line block ×6, first 2 shown]
	scratch_load_b128 v[64:67], off, off offset:448 ; 16-byte Folded Reload
	s_wait_loadcnt 0x2
	v_fma_f64 v[76:77], v[184:185], v[62:63], v[82:83]
	v_fma_f64 v[22:23], v[186:187], v[62:63], v[22:23]
	;; [unrolled: 1-line block ×3, first 2 shown]
	s_wait_loadcnt 0x1
	v_fma_f64 v[24:25], v[166:167], v[62:63], v[24:25]
	v_fma_f64 v[26:27], v[168:169], v[62:63], v[26:27]
	;; [unrolled: 1-line block ×14, first 2 shown]
	s_delay_alu instid0(VALU_DEP_4) | instskip(NEXT) | instid1(VALU_DEP_4)
	v_fma_f64 v[98:99], v[168:169], v[54:55], v[98:99]
	v_fma_f64 v[100:101], v[4:5], v[54:55], v[100:101]
	scratch_store_b64 off, v[62:63], off offset:832 ; 8-byte Folded Spill
	v_fma_f64 v[62:63], v[184:185], v[58:59], v[82:83]
	v_fma_f64 v[82:83], v[186:187], v[58:59], v[88:89]
	;; [unrolled: 1-line block ×19, first 2 shown]
	scratch_store_b64 off, v[62:63], off offset:840 ; 8-byte Folded Spill
	v_fma_f64 v[54:55], v[128:129], v[48:49], v[80:81]
	v_fma_f64 v[56:57], v[108:109], v[48:49], v[86:87]
	;; [unrolled: 1-line block ×3, first 2 shown]
	scratch_load_b128 v[72:75], off, off offset:680 ; 16-byte Folded Reload
	scratch_store_b64 off, v[52:53], off offset:848 ; 8-byte Folded Spill
	v_fma_f64 v[52:53], v[126:127], v[48:49], v[70:71]
	v_fma_f64 v[70:71], v[110:111], v[48:49], v[112:113]
	;; [unrolled: 1-line block ×4, first 2 shown]
	scratch_load_b128 v[54:57], off, off offset:480 ; 16-byte Folded Reload
	v_fma_f64 v[48:49], v[104:105], v[48:49], v[8:9]
	v_fma_f64 v[2:3], v[4:5], v[50:51], v[20:21]
	v_fma_f64 v[170:171], v[0:1], v[50:51], v[52:53]
	v_fma_f64 v[114:115], v[186:187], v[50:51], v[70:71]
	s_clause 0x1
	scratch_load_b128 v[68:71], off, off offset:464
	scratch_load_b64 v[0:1], off, off offset:832 th:TH_LOAD_LU
	v_fma_f64 v[48:49], v[6:7], v[50:51], v[48:49]
	scratch_load_b128 v[50:53], off, off offset:728 ; 16-byte Folded Reload
	s_wait_loadcnt 0x4
	v_fma_f64 v[28:29], v[72:73], v[44:45], v[28:29]
	v_fma_f64 v[58:59], v[74:75], v[36:37], v[58:59]
	s_wait_loadcnt 0x2
	v_fma_f64 v[16:17], v[68:69], v[44:45], v[60:61]
	v_fma_f64 v[18:19], v[70:71], v[44:45], v[10:11]
	scratch_load_b128 v[60:63], off, off offset:712 ; 16-byte Folded Reload
	v_fma_f64 v[8:9], v[54:55], v[46:47], v[16:17]
	scratch_store_b64 off, v[8:9], off offset:904 ; 8-byte Folded Spill
	v_fma_f64 v[8:9], v[56:57], v[46:47], v[18:19]
	scratch_store_b64 off, v[8:9], off offset:1248 ; 8-byte Folded Spill
	scratch_load_b128 v[8:11], off, off     ; 16-byte Folded Reload
	v_fma_f64 v[20:21], v[64:65], v[44:45], v[76:77]
	scratch_load_b128 v[76:79], off, off offset:696 ; 16-byte Folded Reload
	v_fma_f64 v[22:23], v[66:67], v[44:45], v[22:23]
	s_wait_loadcnt 0x2
	v_fma_f64 v[18:19], v[60:61], v[46:47], v[28:29]
	scratch_store_b64 off, v[18:19], off offset:888 ; 8-byte Folded Spill
	s_wait_loadcnt 0x1
	v_fma_f64 v[16:17], v[8:9], v[46:47], v[20:21]
	v_fma_f64 v[20:21], v[68:69], v[36:37], v[158:159]
	s_wait_loadcnt 0x0
	v_fma_f64 v[24:25], v[76:77], v[44:45], v[24:25]
	v_fma_f64 v[26:27], v[78:79], v[44:45], v[26:27]
	v_fma_f64 v[44:45], v[74:75], v[44:45], v[30:31]
	v_fma_f64 v[28:29], v[76:77], v[36:37], v[88:89]
	scratch_store_b64 off, v[16:17], off offset:1232 ; 8-byte Folded Spill
	v_fma_f64 v[16:17], v[10:11], v[46:47], v[22:23]
	v_fma_f64 v[22:23], v[70:71], v[36:37], v[0:1]
	scratch_load_b64 v[0:1], off, off offset:840 th:TH_LOAD_LU ; 8-byte Folded Reload
	v_fma_f64 v[18:19], v[62:63], v[46:47], v[44:45]
	v_fma_f64 v[44:45], v[78:79], v[36:37], v[92:93]
	scratch_store_b64 off, v[16:17], off offset:1192 ; 8-byte Folded Spill
	v_fma_f64 v[16:17], v[50:51], v[46:47], v[24:25]
	s_clause 0x1
	scratch_store_b64 off, v[18:19], off offset:872
	scratch_store_b64 off, v[16:17], off offset:1176
	v_fma_f64 v[16:17], v[52:53], v[46:47], v[26:27]
	v_fma_f64 v[26:27], v[66:67], v[36:37], v[82:83]
	;; [unrolled: 1-line block ×3, first 2 shown]
	scratch_store_b64 off, v[16:17], off offset:1072 ; 8-byte Folded Spill
	v_fma_f64 v[16:17], v[54:55], v[38:39], v[20:21]
	s_wait_loadcnt 0x0
	v_fma_f64 v[24:25], v[64:65], v[36:37], v[0:1]
	scratch_load_b64 v[0:1], off, off offset:848 th:TH_LOAD_LU ; 8-byte Folded Reload
	v_fma_f64 v[18:19], v[8:9], v[38:39], v[24:25]
	v_fma_f64 v[24:25], v[70:71], v[40:41], v[106:107]
	scratch_store_b64 off, v[18:19], off offset:1216 ; 8-byte Folded Spill
	v_fma_f64 v[18:19], v[10:11], v[38:39], v[26:27]
	v_fma_f64 v[20:21], v[56:57], v[42:43], v[24:25]
	;; [unrolled: 1-line block ×4, first 2 shown]
	scratch_store_b64 off, v[18:19], off offset:1184 ; 8-byte Folded Spill
	v_fma_f64 v[18:19], v[50:51], v[38:39], v[28:29]
	v_fma_f64 v[28:29], v[66:67], v[40:41], v[90:91]
	scratch_store_b64 off, v[18:19], off offset:1120 ; 8-byte Folded Spill
	v_fma_f64 v[18:19], v[52:53], v[38:39], v[44:45]
	v_fma_f64 v[44:45], v[78:79], v[40:41], v[98:99]
	;; [unrolled: 3-line block ×3, first 2 shown]
	scratch_store_b64 off, v[18:19], off offset:880 ; 8-byte Folded Spill
	v_fma_f64 v[18:19], v[62:63], v[38:39], v[58:59]
	scratch_store_b64 off, v[16:17], off offset:896 ; 8-byte Folded Spill
	v_fma_f64 v[16:17], v[56:57], v[38:39], v[22:23]
	v_fma_f64 v[22:23], v[68:69], v[40:41], v[164:165]
	;; [unrolled: 1-line block ×4, first 2 shown]
	scratch_store_b64 off, v[18:19], off offset:832 ; 8-byte Folded Spill
	v_fma_f64 v[18:19], v[76:77], v[40:41], v[96:97]
	scratch_load_b128 v[96:99], off, off offset:80 ; 16-byte Folded Reload
	v_fma_f64 v[18:19], v[50:51], v[42:43], v[18:19]
	s_wait_loadcnt 0x1
	v_fma_f64 v[36:37], v[74:75], v[40:41], v[0:1]
	scratch_store_b64 off, v[18:19], off offset:984 ; 8-byte Folded Spill
	v_fma_f64 v[18:19], v[52:53], v[42:43], v[44:45]
	v_fma_f64 v[44:45], v[78:79], v[32:33], v[80:81]
	;; [unrolled: 1-line block ×3, first 2 shown]
	scratch_store_b64 off, v[18:19], off offset:968 ; 8-byte Folded Spill
	v_fma_f64 v[18:19], v[60:61], v[42:43], v[46:47]
	scratch_store_b64 off, v[16:17], off offset:1240 ; 8-byte Folded Spill
	v_fma_f64 v[16:17], v[54:55], v[42:43], v[22:23]
	v_fma_f64 v[46:47], v[72:73], v[32:33], v[2:3]
	scratch_load_b128 v[22:25], off, off offset:64 ; 16-byte Folded Reload
	scratch_store_b64 off, v[18:19], off offset:864 ; 8-byte Folded Spill
	v_fma_f64 v[18:19], v[62:63], v[42:43], v[36:37]
	scratch_store_b64 off, v[20:21], off offset:1000 ; 8-byte Folded Spill
	v_fma_f64 v[20:21], v[10:11], v[42:43], v[28:29]
	v_fma_f64 v[28:29], v[70:71], v[32:33], v[86:87]
	;; [unrolled: 1-line block ×4, first 2 shown]
	scratch_load_b128 v[114:117], off, off offset:144 ; 16-byte Folded Reload
	scratch_store_b64 off, v[18:19], off offset:840 ; 8-byte Folded Spill
	v_fma_f64 v[18:19], v[56:57], v[34:35], v[28:29]
	scratch_load_b128 v[26:29], off, off offset:32 ; 16-byte Folded Reload
	scratch_store_b64 off, v[18:19], off offset:976 ; 8-byte Folded Spill
	v_fma_f64 v[18:19], v[8:9], v[34:35], v[36:37]
	scratch_store_b64 off, v[18:19], off offset:960 ; 8-byte Folded Spill
	v_fma_f64 v[18:19], v[10:11], v[34:35], v[38:39]
	;; [unrolled: 2-line block ×3, first 2 shown]
	scratch_load_b128 v[40:43], off, off offset:128 ; 16-byte Folded Reload
	s_wait_loadcnt 0x4
	v_fma_f64 v[106:107], v[98:99], v[150:151], 0
	scratch_store_b64 off, v[18:19], off offset:944 ; 8-byte Folded Spill
	v_fma_f64 v[18:19], v[52:53], v[34:35], v[44:45]
	scratch_store_b64 off, v[18:19], off offset:1200 ; 8-byte Folded Spill
	;; [unrolled: 2-line block ×3, first 2 shown]
	v_fma_f64 v[20:21], v[74:75], v[32:33], v[48:49]
	v_fma_f64 v[46:47], v[96:97], v[12:13], 0
	;; [unrolled: 1-line block ×3, first 2 shown]
	scratch_store_b64 off, v[18:19], off offset:856 ; 8-byte Folded Spill
	v_fma_f64 v[18:19], v[62:63], v[34:35], v[20:21]
	scratch_store_b64 off, v[18:19], off offset:848 ; 8-byte Folded Spill
	scratch_load_b128 v[18:21], off, off offset:160 ; 16-byte Folded Reload
	s_wait_loadcnt 0x3
	v_fma_f64 v[44:45], v[116:117], v[12:13], 0
	v_fma_f64 v[90:91], v[114:115], v[150:151], 0
	s_wait_loadcnt 0x2
	v_dual_mov_b32 v0, v26 :: v_dual_mov_b32 v1, v27
	v_dual_mov_b32 v2, v28 :: v_dual_mov_b32 v3, v29
	s_wait_loadcnt 0x1
	v_fma_f64 v[36:37], v[40:41], v[12:13], 0
	v_fma_f64 v[38:39], v[42:43], v[12:13], 0
	v_dual_mov_b32 v89, v43 :: v_dual_mov_b32 v88, v42
	v_dual_mov_b32 v87, v41 :: v_dual_mov_b32 v86, v40
	v_fma_f64 v[42:43], v[114:115], v[12:13], 0
	s_delay_alu instid0(VALU_DEP_3) | instskip(NEXT) | instid1(VALU_DEP_3)
	v_fma_f64 v[88:89], v[88:89], v[150:151], 0
	v_fma_f64 v[86:87], v[86:87], v[150:151], 0
	;; [unrolled: 1-line block ×4, first 2 shown]
	scratch_load_b128 v[26:29], off, off offset:16 ; 16-byte Folded Reload
	v_fma_f64 v[88:89], v[2:3], v[152:153], v[88:89]
	v_fma_f64 v[86:87], v[0:1], v[152:153], v[86:87]
	scratch_load_b128 v[0:3], off, off offset:256 ; 16-byte Folded Reload
	v_fma_f64 v[36:37], v[176:177], v[146:147], v[36:37]
	v_fma_f64 v[38:39], v[178:179], v[146:147], v[38:39]
	;; [unrolled: 1-line block ×4, first 2 shown]
	s_wait_loadcnt 0x1
	v_dual_mov_b32 v95, v29 :: v_dual_mov_b32 v94, v28
	v_fma_f64 v[42:43], v[26:27], v[14:15], v[42:43]
	v_fma_f64 v[44:45], v[28:29], v[14:15], v[44:45]
	v_dual_mov_b32 v93, v27 :: v_dual_mov_b32 v92, v26
	scratch_load_b128 v[26:29], off, off offset:384 ; 16-byte Folded Reload
	v_fma_f64 v[32:33], v[18:19], v[12:13], 0
	v_fma_f64 v[34:35], v[20:21], v[12:13], 0
	;; [unrolled: 1-line block ×15, first 2 shown]
	s_delay_alu instid0(VALU_DEP_4)
	v_fma_f64 v[84:85], v[156:157], v[180:181], v[84:85]
	s_wait_loadcnt 0x0
	v_fma_f64 v[46:47], v[26:27], v[14:15], v[46:47]
	v_fma_f64 v[48:49], v[28:29], v[14:15], v[48:49]
	scratch_load_b128 v[12:15], off, off offset:272 ; 16-byte Folded Reload
	v_fma_f64 v[94:95], v[26:27], v[152:153], v[94:95]
	v_fma_f64 v[106:107], v[28:29], v[152:153], v[106:107]
	s_wait_loadcnt 0x0
	v_dual_mov_b32 v29, v15 :: v_dual_mov_b32 v28, v14
	v_fma_f64 v[42:43], v[12:13], v[146:147], v[42:43]
	v_fma_f64 v[44:45], v[14:15], v[146:147], v[44:45]
	v_dual_mov_b32 v27, v13 :: v_dual_mov_b32 v26, v12
	scratch_load_b128 v[12:15], off, off offset:304 ; 16-byte Folded Reload
	v_fma_f64 v[92:93], v[28:29], v[180:181], v[92:93]
	v_fma_f64 v[90:91], v[26:27], v[180:181], v[90:91]
	v_dual_mov_b32 v26, v108 :: v_dual_mov_b32 v27, v109
	v_dual_mov_b32 v28, v110 :: v_dual_mov_b32 v29, v111
	scratch_load_b128 v[110:113], off, off offset:792 th:TH_LOAD_LU ; 16-byte Folded Reload
	v_fma_f64 v[42:43], v[118:119], v[148:149], v[42:43]
	v_fma_f64 v[44:45], v[120:121], v[148:149], v[44:45]
	;; [unrolled: 1-line block ×8, first 2 shown]
	s_delay_alu instid0(VALU_DEP_2) | instskip(NEXT) | instid1(VALU_DEP_2)
	v_fma_f64 v[42:43], v[166:167], v[174:175], v[42:43]
	v_fma_f64 v[44:45], v[168:169], v[174:175], v[44:45]
	s_delay_alu instid0(VALU_DEP_2) | instskip(NEXT) | instid1(VALU_DEP_2)
	v_fma_f64 v[42:43], v[76:77], v[130:131], v[42:43]
	v_fma_f64 v[44:45], v[78:79], v[130:131], v[44:45]
	s_wait_loadcnt 0x1
	v_fma_f64 v[40:41], v[12:13], v[148:149], v[32:33]
	v_dual_mov_b32 v33, v15 :: v_dual_mov_b32 v32, v14
	v_fma_f64 v[34:35], v[14:15], v[148:149], v[34:35]
	v_dual_mov_b32 v31, v13 :: v_dual_mov_b32 v30, v12
	scratch_load_b128 v[12:15], off, off offset:96 ; 16-byte Folded Reload
	v_fma_f64 v[46:47], v[0:1], v[146:147], v[46:47]
	v_fma_f64 v[48:49], v[2:3], v[146:147], v[48:49]
	v_fma_f64 v[94:95], v[0:1], v[180:181], v[94:95]
	v_fma_f64 v[106:107], v[2:3], v[180:181], v[106:107]
	v_fma_f64 v[82:83], v[30:31], v[182:183], v[82:83]
	v_fma_f64 v[84:85], v[32:33], v[182:183], v[84:85]
	s_wait_loadcnt 0x1
	v_fma_f64 v[90:91], v[142:143], v[110:111], v[90:91]
	v_fma_f64 v[92:93], v[144:145], v[110:111], v[92:93]
	scratch_load_b128 v[178:181], off, off offset:32 ; 16-byte Folded Reload
	v_fma_f64 v[32:33], v[126:127], v[172:173], v[40:41]
	v_fma_f64 v[34:35], v[128:129], v[172:173], v[34:35]
	v_fma_f64 v[46:47], v[188:189], v[148:149], v[46:47]
	v_fma_f64 v[48:49], v[190:191], v[148:149], v[48:49]
	v_fma_f64 v[94:95], v[188:189], v[182:183], v[94:95]
	v_fma_f64 v[106:107], v[190:191], v[182:183], v[106:107]
	v_fma_f64 v[82:83], v[126:127], v[110:111], v[82:83]
	v_fma_f64 v[84:85], v[128:129], v[110:111], v[84:85]
	v_fma_f64 v[108:109], v[166:167], v[112:113], v[90:91]
	v_fma_f64 v[92:93], v[168:169], v[112:113], v[92:93]
	v_fma_f64 v[46:47], v[102:103], v[172:173], v[46:47]
	v_fma_f64 v[48:49], v[104:105], v[172:173], v[48:49]
	v_fma_f64 v[94:95], v[102:103], v[110:111], v[94:95]
	v_fma_f64 v[106:107], v[104:105], v[110:111], v[106:107]
	s_delay_alu instid0(VALU_DEP_4) | instskip(NEXT) | instid1(VALU_DEP_4)
	v_fma_f64 v[46:47], v[4:5], v[174:175], v[46:47]
	v_fma_f64 v[48:49], v[6:7], v[174:175], v[48:49]
	s_delay_alu instid0(VALU_DEP_3) | instskip(NEXT) | instid1(VALU_DEP_3)
	v_fma_f64 v[106:107], v[6:7], v[112:113], v[106:107]
	v_fma_f64 v[46:47], v[72:73], v[130:131], v[46:47]
	s_delay_alu instid0(VALU_DEP_3) | instskip(NEXT) | instid1(VALU_DEP_3)
	v_fma_f64 v[48:49], v[74:75], v[130:131], v[48:49]
	v_fma_f64 v[106:107], v[74:75], v[134:135], v[106:107]
	s_wait_loadcnt 0x1
	v_dual_mov_b32 v153, v15 :: v_dual_mov_b32 v152, v14
	v_fma_f64 v[36:37], v[12:13], v[148:149], v[36:37]
	v_fma_f64 v[38:39], v[14:15], v[148:149], v[38:39]
	v_dual_mov_b32 v151, v13 :: v_dual_mov_b32 v150, v12
	scratch_load_b128 v[12:15], off, off offset:352 ; 16-byte Folded Reload
	v_fma_f64 v[88:89], v[152:153], v[182:183], v[88:89]
	v_dual_mov_b32 v146, v154 :: v_dual_mov_b32 v147, v155
	v_fma_f64 v[86:87], v[150:151], v[182:183], v[86:87]
	v_dual_mov_b32 v148, v156 :: v_dual_mov_b32 v149, v157
	v_fma_f64 v[36:37], v[26:27], v[172:173], v[36:37]
	v_fma_f64 v[38:39], v[28:29], v[172:173], v[38:39]
	v_dual_mov_b32 v173, v25 :: v_dual_mov_b32 v172, v24
	v_dual_mov_b32 v171, v23 :: v_dual_mov_b32 v170, v22
	v_fma_f64 v[88:89], v[28:29], v[110:111], v[88:89]
	scratch_load_b128 v[22:25], off, off offset:16 ; 16-byte Folded Reload
	v_fma_f64 v[86:87], v[26:27], v[110:111], v[86:87]
	v_fma_f64 v[110:111], v[4:5], v[112:113], v[94:95]
	scratch_load_b128 v[4:7], off, off offset:776 th:TH_LOAD_LU ; 16-byte Folded Reload
	v_fma_f64 v[118:119], v[170:171], v[140:141], v[118:119]
	v_fma_f64 v[120:121], v[172:173], v[140:141], v[120:121]
	;; [unrolled: 1-line block ×6, first 2 shown]
	s_delay_alu instid0(VALU_DEP_4) | instskip(NEXT) | instid1(VALU_DEP_4)
	v_fma_f64 v[36:37], v[64:65], v[130:131], v[36:37]
	v_fma_f64 v[38:39], v[66:67], v[130:131], v[38:39]
	s_delay_alu instid0(VALU_DEP_2)
	v_fma_f64 v[0:1], v[8:9], v[132:133], v[36:37]
	scratch_store_b64 off, v[0:1], off offset:1280 ; 8-byte Folded Spill
	v_fma_f64 v[0:1], v[10:11], v[132:133], v[38:39]
	scratch_store_b64 off, v[0:1], off offset:1256 ; 8-byte Folded Spill
	v_fma_f64 v[0:1], v[50:51], v[132:133], v[42:43]
	v_fma_f64 v[42:43], v[64:65], v[134:135], v[86:87]
	scratch_store_b64 off, v[0:1], off offset:1056 ; 8-byte Folded Spill
	v_fma_f64 v[0:1], v[52:53], v[132:133], v[44:45]
	v_fma_f64 v[44:45], v[66:67], v[134:135], v[88:89]
	scratch_load_b128 v[86:89], off, off offset:128 ; 16-byte Folded Reload
	scratch_store_b64 off, v[0:1], off offset:1040 ; 8-byte Folded Spill
	v_fma_f64 v[0:1], v[60:61], v[132:133], v[46:47]
	v_fma_f64 v[46:47], v[76:77], v[134:135], v[108:109]
	;; [unrolled: 1-line block ×3, first 2 shown]
	s_wait_loadcnt 0x3
	v_fma_f64 v[34:35], v[14:15], v[174:175], v[34:35]
	v_fma_f64 v[82:83], v[12:13], v[112:113], v[82:83]
	;; [unrolled: 1-line block ×4, first 2 shown]
	v_dual_mov_b32 v177, v117 :: v_dual_mov_b32 v176, v116
	v_dual_mov_b32 v175, v115 :: v_dual_mov_b32 v174, v114
	v_fma_f64 v[114:115], v[96:97], v[160:161], 0
	v_fma_f64 v[116:117], v[98:99], v[160:161], 0
	s_delay_alu instid0(VALU_DEP_3)
	v_fma_f64 v[158:159], v[174:175], v[138:139], 0
	scratch_store_b64 off, v[0:1], off offset:528 ; 8-byte Folded Spill
	v_fma_f64 v[0:1], v[62:63], v[132:133], v[48:49]
	v_fma_f64 v[48:49], v[78:79], v[134:135], v[92:93]
	scratch_load_b128 v[90:93], off, off offset:288 ; 16-byte Folded Reload
	v_fma_f64 v[34:35], v[70:71], v[130:131], v[34:35]
	v_fma_f64 v[38:39], v[70:71], v[134:135], v[84:85]
	;; [unrolled: 1-line block ×3, first 2 shown]
	s_wait_loadcnt 0x3
	v_fma_f64 v[158:159], v[22:23], v[140:141], v[158:159]
	scratch_store_b64 off, v[0:1], off offset:496 ; 8-byte Folded Spill
	v_fma_f64 v[94:95], v[56:57], v[132:133], v[34:35]
	v_fma_f64 v[34:35], v[68:69], v[134:135], v[82:83]
	;; [unrolled: 1-line block ×4, first 2 shown]
	s_clause 0x1
	scratch_load_b128 v[130:133], off, off offset:400
	scratch_load_b128 v[82:85], off, off offset:256
	v_dual_mov_b32 v30, v126 :: v_dual_mov_b32 v31, v127
	v_dual_mov_b32 v32, v128 :: v_dual_mov_b32 v33, v129
	scratch_load_b128 v[38:41], off, off offset:304 ; 16-byte Folded Reload
	v_fma_f64 v[110:111], v[54:55], v[136:137], v[34:35]
	scratch_load_b128 v[34:37], off, off offset:384 ; 16-byte Folded Reload
	scratch_store_b64 off, v[0:1], off offset:1272 ; 8-byte Folded Spill
	v_fma_f64 v[0:1], v[8:9], v[136:137], v[42:43]
	v_fma_f64 v[42:43], v[18:19], v[160:161], 0
	scratch_store_b64 off, v[0:1], off offset:1024 ; 8-byte Folded Spill
	v_fma_f64 v[0:1], v[10:11], v[136:137], v[44:45]
	v_fma_f64 v[44:45], v[20:21], v[160:161], 0
	;; [unrolled: 1-line block ×3, first 2 shown]
	scratch_store_b64 off, v[0:1], off offset:1208 ; 8-byte Folded Spill
	v_fma_f64 v[0:1], v[50:51], v[136:137], v[46:47]
	v_fma_f64 v[44:45], v[172:173], v[162:163], v[44:45]
	s_wait_loadcnt 0x6
	v_fma_f64 v[42:43], v[146:147], v[4:5], v[42:43]
	scratch_store_b64 off, v[0:1], off offset:1016 ; 8-byte Folded Spill
	v_fma_f64 v[0:1], v[52:53], v[136:137], v[48:49]
	v_fma_f64 v[44:45], v[148:149], v[4:5], v[44:45]
	s_wait_loadcnt 0x5
	v_fma_f64 v[46:47], v[86:87], v[160:161], 0
	v_fma_f64 v[48:49], v[88:89], v[160:161], 0
	;; [unrolled: 1-line block ×4, first 2 shown]
	scratch_store_b64 off, v[0:1], off offset:1008 ; 8-byte Folded Spill
	v_fma_f64 v[0:1], v[60:61], v[136:137], v[108:109]
	v_fma_f64 v[108:109], v[176:177], v[160:161], 0
	;; [unrolled: 1-line block ×6, first 2 shown]
	scratch_store_b64 off, v[0:1], off offset:792 ; 8-byte Folded Spill
	v_fma_f64 v[0:1], v[62:63], v[136:137], v[106:107]
	v_fma_f64 v[106:107], v[174:175], v[160:161], 0
	;; [unrolled: 1-line block ×4, first 2 shown]
	scratch_store_b64 off, v[0:1], off offset:512 ; 8-byte Folded Spill
	v_dual_mov_b32 v0, v96 :: v_dual_mov_b32 v1, v97
	v_dual_mov_b32 v2, v98 :: v_dual_mov_b32 v3, v99
	v_fma_f64 v[106:107], v[22:23], v[162:163], v[106:107]
	v_fma_f64 v[160:161], v[24:25], v[140:141], v[160:161]
	scratch_load_b128 v[22:25], off, off offset:96 ; 16-byte Folded Reload
	v_dual_mov_b32 v96, v146 :: v_dual_mov_b32 v97, v147
	v_fma_f64 v[152:153], v[2:3], v[138:139], 0
	v_dual_mov_b32 v98, v148 :: v_dual_mov_b32 v99, v149
	s_wait_loadcnt 0x4
	v_fma_f64 v[46:47], v[130:131], v[4:5], v[46:47]
	v_fma_f64 v[48:49], v[132:133], v[4:5], v[48:49]
	s_wait_loadcnt 0x2
	v_fma_f64 v[42:43], v[38:39], v[6:7], v[42:43]
	v_fma_f64 v[44:45], v[40:41], v[6:7], v[44:45]
	;; [unrolled: 3-line block ×3, first 2 shown]
	v_fma_f64 v[162:163], v[0:1], v[138:139], 0
	v_fma_f64 v[152:153], v[36:37], v[140:141], v[152:153]
	s_delay_alu instid0(VALU_DEP_4) | instskip(NEXT) | instid1(VALU_DEP_4)
	v_fma_f64 v[114:115], v[82:83], v[4:5], v[114:115]
	v_fma_f64 v[116:117], v[84:85], v[4:5], v[116:117]
	s_delay_alu instid0(VALU_DEP_4)
	v_fma_f64 v[162:163], v[34:35], v[140:141], v[162:163]
	scratch_load_b128 v[34:37], off, off offset:272 ; 16-byte Folded Reload
	v_fma_f64 v[114:115], v[188:189], v[6:7], v[114:115]
	v_fma_f64 v[116:117], v[190:191], v[6:7], v[116:117]
	s_wait_loadcnt 0x1
	v_fma_f64 v[46:47], v[22:23], v[6:7], v[46:47]
	v_fma_f64 v[48:49], v[24:25], v[6:7], v[48:49]
	v_dual_mov_b32 v137, v25 :: v_dual_mov_b32 v136, v24
	v_dual_mov_b32 v135, v23 :: v_dual_mov_b32 v134, v22
	;; [unrolled: 1-line block ×4, first 2 shown]
	s_wait_loadcnt 0x0
	v_fma_f64 v[106:107], v[34:35], v[4:5], v[106:107]
	v_fma_f64 v[108:109], v[36:37], v[4:5], v[108:109]
	s_delay_alu instid0(VALU_DEP_2) | instskip(NEXT) | instid1(VALU_DEP_2)
	v_fma_f64 v[106:107], v[90:91], v[6:7], v[106:107]
	v_fma_f64 v[108:109], v[92:93], v[6:7], v[108:109]
	scratch_load_b128 v[4:7], off, off offset:760 th:TH_LOAD_LU ; 16-byte Folded Reload
	s_wait_loadcnt 0x0
	v_fma_f64 v[118:119], v[96:97], v[4:5], v[118:119]
	v_fma_f64 v[120:121], v[98:99], v[4:5], v[120:121]
	v_fma_f64 v[126:127], v[130:131], v[4:5], v[126:127]
	v_fma_f64 v[148:149], v[132:133], v[4:5], v[156:157]
	v_fma_f64 v[150:151], v[34:35], v[4:5], v[158:159]
	v_fma_f64 v[154:155], v[36:37], v[4:5], v[160:161]
	v_fma_f64 v[156:157], v[82:83], v[4:5], v[162:163]
	v_fma_f64 v[144:145], v[84:85], v[4:5], v[152:153]
	v_dual_mov_b32 v163, v15 :: v_dual_mov_b32 v162, v14
	v_dual_mov_b32 v161, v13 :: v_dual_mov_b32 v160, v12
	v_fma_f64 v[118:119], v[38:39], v[6:7], v[118:119]
	v_fma_f64 v[120:121], v[40:41], v[6:7], v[120:121]
	;; [unrolled: 1-line block ×8, first 2 shown]
	scratch_load_b128 v[4:7], off, off offset:744 th:TH_LOAD_LU ; 16-byte Folded Reload
	s_wait_loadcnt 0x0
	v_fma_f64 v[42:43], v[30:31], v[4:5], v[42:43]
	v_fma_f64 v[44:45], v[32:33], v[4:5], v[44:45]
	;; [unrolled: 1-line block ×10, first 2 shown]
	scratch_load_b128 v[12:15], off, off offset:336 ; 16-byte Folded Reload
	v_fma_f64 v[46:47], v[184:185], v[6:7], v[46:47]
	v_fma_f64 v[48:49], v[186:187], v[6:7], v[48:49]
	;; [unrolled: 1-line block ×4, first 2 shown]
	s_wait_loadcnt 0x0
	v_fma_f64 v[114:115], v[12:13], v[6:7], v[114:115]
	v_fma_f64 v[116:117], v[14:15], v[6:7], v[116:117]
	scratch_load_b128 v[4:7], off, off offset:176 th:TH_LOAD_LU ; 16-byte Folded Reload
	s_wait_loadcnt 0x0
	v_fma_f64 v[118:119], v[30:31], v[4:5], v[118:119]
	v_fma_f64 v[120:121], v[32:33], v[4:5], v[120:121]
	;; [unrolled: 1-line block ×8, first 2 shown]
	v_dual_mov_b32 v153, v21 :: v_dual_mov_b32 v152, v20
	v_dual_mov_b32 v151, v19 :: v_dual_mov_b32 v150, v18
	v_fma_f64 v[118:119], v[160:161], v[6:7], v[118:119]
	v_fma_f64 v[120:121], v[162:163], v[6:7], v[120:121]
	;; [unrolled: 1-line block ×8, first 2 shown]
	scratch_load_b128 v[4:7], off, off offset:368 th:TH_LOAD_LU ; 16-byte Folded Reload
	v_dual_mov_b32 v146, v174 :: v_dual_mov_b32 v147, v175
	v_dual_mov_b32 v148, v176 :: v_dual_mov_b32 v149, v177
	s_wait_loadcnt 0x0
	v_fma_f64 v[44:45], v[70:71], v[4:5], v[44:45]
	v_fma_f64 v[42:43], v[68:69], v[4:5], v[42:43]
	;; [unrolled: 1-line block ×13, first 2 shown]
	scratch_store_b64 off, v[4:5], off offset:1264 ; 8-byte Folded Spill
	v_fma_f64 v[4:5], v[10:11], v[6:7], v[48:49]
	v_fma_f64 v[48:49], v[70:71], v[122:123], v[120:121]
	;; [unrolled: 1-line block ×3, first 2 shown]
	scratch_load_b128 v[134:137], off, off offset:384 ; 16-byte Folded Reload
	scratch_store_b64 off, v[4:5], off offset:1168 ; 8-byte Folded Spill
	v_fma_f64 v[4:5], v[50:51], v[6:7], v[106:107]
	v_fma_f64 v[106:107], v[64:65], v[122:123], v[126:127]
	;; [unrolled: 1-line block ×3, first 2 shown]
	v_dual_mov_b32 v45, v3 :: v_dual_mov_b32 v44, v2
	v_dual_mov_b32 v43, v1 :: v_dual_mov_b32 v42, v0
	;; [unrolled: 1-line block ×4, first 2 shown]
	scratch_store_b64 off, v[4:5], off offset:1160 ; 8-byte Folded Spill
	v_fma_f64 v[4:5], v[52:53], v[6:7], v[108:109]
	v_fma_f64 v[108:109], v[66:67], v[122:123], v[140:141]
	v_dual_mov_b32 v141, v85 :: v_dual_mov_b32 v140, v84
	v_dual_mov_b32 v139, v83 :: v_dual_mov_b32 v138, v82
	scratch_store_b64 off, v[4:5], off offset:1144 ; 8-byte Folded Spill
	v_fma_f64 v[4:5], v[60:61], v[6:7], v[114:115]
	v_fma_f64 v[114:115], v[76:77], v[122:123], v[144:145]
	v_dual_mov_b32 v142, v178 :: v_dual_mov_b32 v143, v179
	v_dual_mov_b32 v144, v180 :: v_dual_mov_b32 v145, v181
	;; [unrolled: 5-line block ×3, first 2 shown]
	scratch_store_b64 off, v[4:5], off offset:176 ; 8-byte Folded Spill
	v_fma_f64 v[4:5], v[56:57], v[124:125], v[48:49]
	scratch_load_b128 v[46:49], off, off offset:16 ; 16-byte Folded Reload
	scratch_store_b64 off, v[4:5], off offset:1152 ; 8-byte Folded Spill
	v_fma_f64 v[4:5], v[8:9], v[124:125], v[106:107]
	scratch_store_b64 off, v[4:5], off offset:1136 ; 8-byte Folded Spill
	v_fma_f64 v[4:5], v[10:11], v[124:125], v[108:109]
	;; [unrolled: 2-line block ×6, first 2 shown]
	scratch_store_b64 off, v[4:5], off offset:368 ; 8-byte Folded Spill
	scratch_load_b64 v[4:5], off, off offset:904 th:TH_LOAD_LU ; 8-byte Folded Reload
	s_wait_loadcnt 0x0
	v_fma_f64 v[106:107], v[150:151], v[4:5], 0
	v_fma_f64 v[108:109], v[152:153], v[4:5], 0
	;; [unrolled: 1-line block ×8, first 2 shown]
	scratch_load_b64 v[4:5], off, off offset:896 th:TH_LOAD_LU ; 8-byte Folded Reload
	s_wait_loadcnt 0x0
	v_fma_f64 v[106:107], v[154:155], v[4:5], v[106:107]
	v_fma_f64 v[108:109], v[156:157], v[4:5], v[108:109]
	;; [unrolled: 1-line block ×8, first 2 shown]
	scratch_load_b128 v[0:3], off, off offset:96 ; 16-byte Folded Reload
	v_fma_f64 v[118:119], v[46:47], v[4:5], v[118:119]
	v_fma_f64 v[120:121], v[48:49], v[4:5], v[120:121]
	v_dual_mov_b32 v4, v130 :: v_dual_mov_b32 v5, v131
	v_dual_mov_b32 v6, v132 :: v_dual_mov_b32 v7, v133
	v_fma_f64 v[124:125], v[82:83], v[16:17], v[128:129]
	v_fma_f64 v[96:97], v[84:85], v[16:17], v[122:123]
	s_delay_alu instid0(VALU_DEP_4)
	v_fma_f64 v[114:115], v[4:5], v[16:17], v[114:115]
	v_dual_mov_b32 v85, v25 :: v_dual_mov_b32 v84, v24
	v_fma_f64 v[116:117], v[6:7], v[16:17], v[116:117]
	v_dual_mov_b32 v83, v23 :: v_dual_mov_b32 v82, v22
	v_fma_f64 v[106:107], v[38:39], v[80:81], v[106:107]
	v_fma_f64 v[108:109], v[40:41], v[80:81], v[108:109]
	v_fma_f64 v[118:119], v[34:35], v[16:17], v[118:119]
	v_fma_f64 v[120:121], v[36:37], v[16:17], v[120:121]
	scratch_load_b64 v[16:17], off, off offset:1120 th:TH_LOAD_LU ; 8-byte Folded Reload
	v_fma_f64 v[122:123], v[188:189], v[80:81], v[124:125]
	v_fma_f64 v[96:97], v[190:191], v[80:81], v[96:97]
	;; [unrolled: 1-line block ×4, first 2 shown]
	scratch_load_b64 v[30:31], off, off offset:1072 th:TH_LOAD_LU ; 8-byte Folded Reload
	v_fma_f64 v[118:119], v[90:91], v[80:81], v[118:119]
	v_fma_f64 v[120:121], v[92:93], v[80:81], v[120:121]
	;; [unrolled: 1-line block ×3, first 2 shown]
	s_wait_loadcnt 0x2
	v_fma_f64 v[114:115], v[0:1], v[80:81], v[114:115]
	v_fma_f64 v[116:117], v[2:3], v[80:81], v[116:117]
	v_dual_mov_b32 v0, v12 :: v_dual_mov_b32 v1, v13
	v_dual_mov_b32 v2, v14 :: v_dual_mov_b32 v3, v15
	;; [unrolled: 1-line block ×4, first 2 shown]
	s_delay_alu instid0(VALU_DEP_3)
	v_fma_f64 v[96:97], v[2:3], v[110:111], v[96:97]
	v_fma_f64 v[108:109], v[26:27], v[112:113], v[114:115]
	;; [unrolled: 1-line block ×6, first 2 shown]
	v_dual_mov_b32 v102, v160 :: v_dual_mov_b32 v103, v161
	v_dual_mov_b32 v104, v162 :: v_dual_mov_b32 v105, v163
	;; [unrolled: 1-line block ×3, first 2 shown]
	s_delay_alu instid0(VALU_DEP_3) | instskip(SKIP_1) | instid1(VALU_DEP_4)
	v_fma_f64 v[98:99], v[102:103], v[110:111], v[98:99]
	v_fma_f64 v[96:97], v[74:75], v[158:159], v[96:97]
	;; [unrolled: 1-line block ×3, first 2 shown]
	v_dual_mov_b32 v161, v87 :: v_dual_mov_b32 v160, v86
	v_fma_f64 v[108:109], v[184:185], v[110:111], v[108:109]
	v_fma_f64 v[112:113], v[186:187], v[110:111], v[114:115]
	;; [unrolled: 1-line block ×5, first 2 shown]
	s_wait_loadcnt 0x0
	v_fma_f64 v[100:101], v[152:153], v[30:31], 0
	v_fma_f64 v[74:75], v[44:45], v[30:31], 0
	v_fma_f64 v[98:99], v[68:69], v[158:159], v[98:99]
	v_fma_f64 v[106:107], v[70:71], v[158:159], v[106:107]
	v_fma_f64 v[108:109], v[64:65], v[158:159], v[108:109]
	v_fma_f64 v[110:111], v[66:67], v[158:159], v[112:113]
	v_fma_f64 v[112:113], v[76:77], v[158:159], v[114:115]
	v_fma_f64 v[114:115], v[78:79], v[158:159], v[116:117]
	v_fma_f64 v[116:117], v[72:73], v[158:159], v[118:119]
	v_fma_f64 v[0:1], v[54:55], v[126:127], v[98:99]
	scratch_store_b64 off, v[0:1], off offset:936 ; 8-byte Folded Spill
	v_fma_f64 v[0:1], v[56:57], v[126:127], v[106:107]
	scratch_store_b64 off, v[0:1], off offset:928 ; 8-byte Folded Spill
	v_fma_f64 v[0:1], v[8:9], v[126:127], v[108:109]
	;; [unrolled: 2-line block ×3, first 2 shown]
	v_dual_mov_b32 v8, v130 :: v_dual_mov_b32 v9, v131
	v_dual_mov_b32 v10, v132 :: v_dual_mov_b32 v11, v133
	scratch_store_b64 off, v[0:1], off offset:912 ; 8-byte Folded Spill
	v_fma_f64 v[0:1], v[50:51], v[126:127], v[112:113]
	scratch_store_b64 off, v[0:1], off offset:904 ; 8-byte Folded Spill
	v_fma_f64 v[0:1], v[52:53], v[126:127], v[114:115]
	;; [unrolled: 2-line block ×4, first 2 shown]
	scratch_store_b64 off, v[0:1], off offset:616 ; 8-byte Folded Spill
	scratch_load_b64 v[0:1], off, off offset:1248 th:TH_LOAD_LU ; 8-byte Folded Reload
	s_wait_loadcnt 0x0
	v_fma_f64 v[96:97], v[150:151], v[0:1], 0
	v_fma_f64 v[98:99], v[152:153], v[0:1], 0
	v_fma_f64 v[106:107], v[86:87], v[0:1], 0
	v_fma_f64 v[108:109], v[88:89], v[0:1], 0
	v_fma_f64 v[110:111], v[146:147], v[0:1], 0
	v_fma_f64 v[112:113], v[148:149], v[0:1], 0
	v_fma_f64 v[114:115], v[42:43], v[0:1], 0
	v_fma_f64 v[56:57], v[44:45], v[0:1], 0
	scratch_load_b64 v[0:1], off, off offset:1240 th:TH_LOAD_LU ; 8-byte Folded Reload
	s_wait_loadcnt 0x0
	v_fma_f64 v[96:97], v[154:155], v[0:1], v[96:97]
	v_fma_f64 v[98:99], v[156:157], v[0:1], v[98:99]
	v_fma_f64 v[106:107], v[142:143], v[0:1], v[106:107]
	v_fma_f64 v[108:109], v[144:145], v[0:1], v[108:109]
	v_fma_f64 v[110:111], v[46:47], v[0:1], v[110:111]
	v_fma_f64 v[112:113], v[48:49], v[0:1], v[112:113]
	v_fma_f64 v[114:115], v[134:135], v[0:1], v[114:115]
	v_fma_f64 v[56:57], v[136:137], v[0:1], v[56:57]
	;; [unrolled: 10-line block ×4, first 2 shown]
	scratch_load_b64 v[0:1], off, off offset:1192 th:TH_LOAD_LU ; 8-byte Folded Reload
	v_fma_f64 v[52:53], v[14:15], v[58:59], v[52:53]
	s_wait_loadcnt 0x0
	v_fma_f64 v[54:55], v[150:151], v[0:1], 0
	v_fma_f64 v[166:167], v[152:153], v[0:1], 0
	;; [unrolled: 1-line block ×8, first 2 shown]
	scratch_load_b64 v[0:1], off, off offset:1184 th:TH_LOAD_LU ; 8-byte Folded Reload
	s_wait_loadcnt 0x0
	v_fma_f64 v[54:55], v[154:155], v[0:1], v[54:55]
	v_fma_f64 v[166:167], v[156:157], v[0:1], v[166:167]
	;; [unrolled: 1-line block ×8, first 2 shown]
	scratch_load_b64 v[0:1], off, off offset:1176 th:TH_LOAD_LU ; 8-byte Folded Reload
	s_wait_loadcnt 0x0
	v_dual_mov_b32 v3, v1 :: v_dual_mov_b32 v2, v0
	v_fma_f64 v[102:103], v[150:151], v[0:1], 0
	v_fma_f64 v[182:183], v[152:153], v[0:1], 0
	;; [unrolled: 1-line block ×22, first 2 shown]
	scratch_load_b64 v[30:31], off, off offset:992 th:TH_LOAD_LU ; 8-byte Folded Reload
	s_wait_loadcnt 0x0
	v_fma_f64 v[16:17], v[154:155], v[30:31], v[16:17]
	v_fma_f64 v[100:101], v[156:157], v[30:31], v[100:101]
	;; [unrolled: 1-line block ×8, first 2 shown]
	s_clause 0x2
	scratch_load_b128 v[60:63], off, off offset:48
	scratch_load_b64 v[30:31], off, off offset:1000 th:TH_LOAD_LU
	scratch_load_b64 v[26:27], off, off offset:1224 th:TH_LOAD_LU
	s_wait_loadcnt 0x2
	v_fma_f64 v[80:81], v[60:61], v[58:59], v[104:105]
	s_wait_loadcnt 0x1
	v_fma_f64 v[78:79], v[60:61], v[30:31], v[96:97]
	s_wait_loadcnt 0x0
	v_fma_f64 v[76:77], v[62:63], v[26:27], v[166:167]
	v_fma_f64 v[166:167], v[34:35], v[26:27], v[18:19]
	scratch_load_b64 v[18:19], off, off offset:984 th:TH_LOAD_LU ; 8-byte Folded Reload
	v_fma_f64 v[96:97], v[62:63], v[30:31], v[98:99]
	v_fma_f64 v[98:99], v[8:9], v[30:31], v[106:107]
	;; [unrolled: 1-line block ×19, first 2 shown]
	s_wait_loadcnt 0x0
	v_fma_f64 v[170:171], v[12:13], v[18:19], v[0:1]
	scratch_load_b64 v[0:1], off, off offset:968 th:TH_LOAD_LU ; 8-byte Folded Reload
	v_fma_f64 v[128:129], v[60:61], v[18:19], v[128:129]
	v_fma_f64 v[24:25], v[62:63], v[18:19], v[24:25]
	;; [unrolled: 1-line block ×7, first 2 shown]
	scratch_load_b128 v[4:7], off, off offset:432 ; 16-byte Folded Reload
	s_wait_loadcnt 0x1
	v_fma_f64 v[26:27], v[60:61], v[0:1], v[16:17]
	v_fma_f64 v[70:71], v[62:63], v[0:1], v[100:101]
	;; [unrolled: 1-line block ×7, first 2 shown]
	scratch_load_b128 v[188:191], off, off offset:664 ; 16-byte Folded Reload
	v_fma_f64 v[66:67], v[14:15], v[0:1], v[74:75]
	s_clause 0x7
	scratch_load_b128 v[16:19], off, off offset:304
	scratch_load_b64 v[30:31], off, off offset:976 th:TH_LOAD_LU
	scratch_load_b128 v[130:133], off, off offset:96
	scratch_load_b128 v[86:89], off, off offset:112
	;; [unrolled: 1-line block ×4, first 2 shown]
	scratch_load_b64 v[28:29], off, off offset:1200 th:TH_LOAD_LU
	scratch_load_b64 v[32:33], off, off offset:1040 th:TH_LOAD_LU
	s_wait_loadcnt 0x6
	v_fma_f64 v[74:75], v[16:17], v[30:31], v[78:79]
	v_fma_f64 v[78:79], v[18:19], v[30:31], v[96:97]
	s_wait_loadcnt 0x5
	v_fma_f64 v[96:97], v[130:131], v[30:31], v[98:99]
	v_fma_f64 v[98:99], v[132:133], v[30:31], v[106:107]
	;; [unrolled: 3-line block ×3, first 2 shown]
	v_fma_f64 v[110:111], v[86:87], v[30:31], v[112:113]
	v_fma_f64 v[56:57], v[88:89], v[30:31], v[56:57]
	scratch_load_b64 v[30:31], off, off offset:960 th:TH_LOAD_LU ; 8-byte Folded Reload
	s_wait_loadcnt 0x2
	v_fma_f64 v[60:61], v[18:19], v[28:29], v[70:71]
	v_fma_f64 v[62:63], v[130:131], v[28:29], v[72:73]
	v_fma_f64 v[70:71], v[132:133], v[28:29], v[100:101]
	v_fma_f64 v[72:73], v[0:1], v[28:29], v[102:103]
	v_fma_f64 v[100:101], v[2:3], v[28:29], v[176:177]
	v_fma_f64 v[58:59], v[88:89], v[28:29], v[66:67]
	v_fma_f64 v[102:103], v[86:87], v[28:29], v[178:179]
	v_fma_f64 v[66:67], v[184:185], v[94:95], v[74:75]
	v_fma_f64 v[74:75], v[186:187], v[94:95], v[78:79]
	s_wait_loadcnt 0x1
	v_fma_f64 v[60:61], v[186:187], v[32:33], v[60:61]
	v_fma_f64 v[72:73], v[82:83], v[32:33], v[72:73]
	s_wait_loadcnt 0x0
	v_fma_f64 v[68:69], v[16:17], v[30:31], v[80:81]
	v_fma_f64 v[80:81], v[18:19], v[30:31], v[104:105]
	;; [unrolled: 1-line block ×8, first 2 shown]
	scratch_load_b64 v[30:31], off, off offset:952 th:TH_LOAD_LU ; 8-byte Folded Reload
	s_wait_loadcnt 0x0
	v_fma_f64 v[54:55], v[16:17], v[30:31], v[54:55]
	v_fma_f64 v[64:65], v[18:19], v[30:31], v[76:77]
	;; [unrolled: 1-line block ×8, first 2 shown]
	scratch_load_b64 v[30:31], off, off offset:944 th:TH_LOAD_LU ; 8-byte Folded Reload
	v_fma_f64 v[174:175], v[16:17], v[28:29], v[26:27]
	s_wait_loadcnt 0x0
	v_fma_f64 v[128:129], v[16:17], v[30:31], v[128:129]
	v_fma_f64 v[22:23], v[0:1], v[30:31], v[22:23]
	;; [unrolled: 1-line block ×3, first 2 shown]
	s_clause 0x1
	scratch_load_b128 v[180:183], off, off
	scratch_load_b128 v[0:3], off, off offset:320
	v_fma_f64 v[172:173], v[88:89], v[30:31], v[138:139]
	s_clause 0x1
	scratch_load_b128 v[138:141], off, off offset:416
	scratch_load_b64 v[16:17], off, off offset:1280 th:TH_LOAD_LU
	v_fma_f64 v[24:25], v[18:19], v[30:31], v[24:25]
	v_fma_f64 v[158:159], v[130:131], v[30:31], v[158:159]
	;; [unrolled: 1-line block ×4, first 2 shown]
	s_wait_loadcnt 0x2
	v_fma_f64 v[56:57], v[2:3], v[94:95], v[56:57]
	v_fma_f64 v[58:59], v[2:3], v[32:33], v[58:59]
	s_wait_loadcnt 0x1
	v_fma_f64 v[78:79], v[138:139], v[94:95], v[96:97]
	v_fma_f64 v[96:97], v[140:141], v[94:95], v[98:99]
	;; [unrolled: 1-line block ×5, first 2 shown]
	s_wait_loadcnt 0x0
	v_fma_f64 v[68:69], v[184:185], v[16:17], v[68:69]
	v_fma_f64 v[80:81], v[186:187], v[16:17], v[80:81]
	;; [unrolled: 1-line block ×8, first 2 shown]
	scratch_load_b64 v[16:17], off, off offset:1256 th:TH_LOAD_LU ; 8-byte Folded Reload
	v_fma_f64 v[62:63], v[138:139], v[32:33], v[62:63]
	v_fma_f64 v[70:71], v[140:141], v[32:33], v[70:71]
	;; [unrolled: 1-line block ×4, first 2 shown]
	s_wait_loadcnt 0x0
	v_fma_f64 v[54:55], v[184:185], v[16:17], v[54:55]
	v_fma_f64 v[64:65], v[186:187], v[16:17], v[64:65]
	;; [unrolled: 1-line block ×8, first 2 shown]
	scratch_load_b64 v[16:17], off, off offset:1056 th:TH_LOAD_LU ; 8-byte Folded Reload
	s_wait_loadcnt 0x0
	v_fma_f64 v[30:31], v[184:185], v[16:17], v[128:129]
	v_fma_f64 v[24:25], v[186:187], v[16:17], v[24:25]
	;; [unrolled: 1-line block ×9, first 2 shown]
	s_clause 0x3
	scratch_load_b128 v[170:173], off, off offset:352
	scratch_load_b64 v[28:29], off, off offset:1272 th:TH_LOAD_LU
	scratch_load_b128 v[130:133], off, off offset:336
	scratch_load_b64 v[32:33], off, off offset:1024 th:TH_LOAD_LU
	s_wait_loadcnt 0x2
	v_fma_f64 v[66:67], v[170:171], v[28:29], v[66:67]
	v_fma_f64 v[74:75], v[172:173], v[28:29], v[74:75]
	v_fma_f64 v[78:79], v[188:189], v[28:29], v[78:79]
	v_fma_f64 v[90:91], v[190:191], v[28:29], v[96:97]
	v_fma_f64 v[96:97], v[4:5], v[28:29], v[98:99]
	v_fma_f64 v[98:99], v[6:7], v[28:29], v[106:107]
	s_wait_loadcnt 0x1
	v_fma_f64 v[102:103], v[130:131], v[28:29], v[108:109]
	v_fma_f64 v[56:57], v[132:133], v[28:29], v[56:57]
	s_wait_loadcnt 0x0
	v_fma_f64 v[68:69], v[170:171], v[32:33], v[68:69]
	v_fma_f64 v[80:81], v[172:173], v[32:33], v[80:81]
	;; [unrolled: 1-line block ×8, first 2 shown]
	s_clause 0x1
	scratch_load_b64 v[28:29], off, off offset:1208 th:TH_LOAD_LU
	scratch_load_b64 v[32:33], off, off offset:1016 th:TH_LOAD_LU
	s_wait_loadcnt 0x1
	v_fma_f64 v[54:55], v[170:171], v[28:29], v[54:55]
	v_fma_f64 v[64:65], v[172:173], v[28:29], v[64:65]
	;; [unrolled: 1-line block ×8, first 2 shown]
	s_wait_loadcnt 0x0
	v_fma_f64 v[30:31], v[170:171], v[32:33], v[30:31]
	v_fma_f64 v[24:25], v[172:173], v[32:33], v[24:25]
	;; [unrolled: 1-line block ×8, first 2 shown]
	s_clause 0x6
	scratch_load_b64 v[32:33], off, off offset:1008 th:TH_LOAD_LU
	scratch_load_b128 v[0:3], off, off offset:464
	scratch_load_b64 v[28:29], off, off offset:1264 th:TH_LOAD_LU
	scratch_load_b128 v[174:177], off, off offset:448
	scratch_load_b128 v[126:129], off, off offset:680
	;; [unrolled: 1-line block ×3, first 2 shown]
	scratch_load_b64 v[40:41], off, off offset:1160 th:TH_LOAD_LU
	s_wait_loadcnt 0x6
	v_fma_f64 v[84:85], v[6:7], v[32:33], v[94:95]
	s_wait_loadcnt 0x4
	v_fma_f64 v[66:67], v[0:1], v[28:29], v[66:67]
	v_fma_f64 v[74:75], v[2:3], v[28:29], v[74:75]
	s_wait_loadcnt 0x3
	v_fma_f64 v[78:79], v[174:175], v[28:29], v[78:79]
	;; [unrolled: 3-line block ×3, first 2 shown]
	v_fma_f64 v[94:95], v[168:169], v[28:29], v[98:99]
	v_fma_f64 v[96:97], v[126:127], v[28:29], v[102:103]
	;; [unrolled: 1-line block ×3, first 2 shown]
	scratch_load_b64 v[28:29], off, off offset:1168 th:TH_LOAD_LU ; 8-byte Folded Reload
	v_fma_f64 v[102:103], v[168:169], v[164:165], v[108:109]
	v_fma_f64 v[16:17], v[170:171], v[32:33], v[16:17]
	;; [unrolled: 1-line block ×11, first 2 shown]
	s_wait_loadcnt 0x1
	v_fma_f64 v[30:31], v[0:1], v[40:41], v[30:31]
	v_fma_f64 v[32:33], v[2:3], v[40:41], v[24:25]
	;; [unrolled: 1-line block ×8, first 2 shown]
	s_wait_loadcnt 0x0
	v_fma_f64 v[108:109], v[168:169], v[28:29], v[114:115]
	v_fma_f64 v[114:115], v[174:175], v[40:41], v[18:19]
	scratch_load_b64 v[18:19], off, off offset:1144 th:TH_LOAD_LU ; 8-byte Folded Reload
	v_fma_f64 v[54:55], v[0:1], v[28:29], v[54:55]
	v_fma_f64 v[64:65], v[2:3], v[28:29], v[64:65]
	;; [unrolled: 1-line block ×10, first 2 shown]
	v_dual_mov_b32 v121, v3 :: v_dual_mov_b32 v120, v2
	v_dual_mov_b32 v119, v1 :: v_dual_mov_b32 v118, v0
	s_wait_loadcnt 0x0
	v_fma_f64 v[16:17], v[0:1], v[18:19], v[16:17]
	s_clause 0x2
	scratch_load_b128 v[22:25], off, off offset:480
	scratch_load_b64 v[0:1], off, off offset:1152 th:TH_LOAD_LU
	scratch_load_b128 v[122:125], off, off offset:728
	v_fma_f64 v[60:61], v[2:3], v[18:19], v[60:61]
	v_fma_f64 v[62:63], v[174:175], v[18:19], v[62:63]
	v_fma_f64 v[70:71], v[176:177], v[18:19], v[70:71]
	v_fma_f64 v[72:73], v[166:167], v[18:19], v[72:73]
	v_fma_f64 v[84:85], v[168:169], v[18:19], v[84:85]
	v_fma_f64 v[86:87], v[126:127], v[18:19], v[86:87]
	v_fma_f64 v[58:59], v[128:129], v[18:19], v[58:59]
	scratch_load_b128 v[18:21], off, off offset:712 ; 16-byte Folded Reload
	s_wait_loadcnt 0x2
	v_fma_f64 v[2:3], v[24:25], v[0:1], v[74:75]
	v_fma_f64 v[112:113], v[22:23], v[0:1], v[66:67]
	s_wait_loadcnt 0x0
	v_fma_f64 v[158:159], v[20:21], v[0:1], v[56:57]
	scratch_store_b64 off, v[2:3], off offset:1160 ; 8-byte Folded Spill
	v_fma_f64 v[2:3], v[180:181], v[0:1], v[78:79]
	scratch_store_b64 off, v[2:3], off offset:1144 ; 8-byte Folded Spill
	v_fma_f64 v[2:3], v[182:183], v[0:1], v[82:83]
	scratch_store_b64 off, v[2:3], off offset:1056 ; 8-byte Folded Spill
	v_fma_f64 v[2:3], v[122:123], v[0:1], v[90:91]
	scratch_store_b64 off, v[2:3], off offset:1000 ; 8-byte Folded Spill
	v_fma_f64 v[2:3], v[124:125], v[0:1], v[94:95]
	scratch_store_b64 off, v[2:3], off offset:968 ; 8-byte Folded Spill
	v_fma_f64 v[2:3], v[18:19], v[0:1], v[96:97]
	scratch_load_b64 v[0:1], off, off offset:1136 th:TH_LOAD_LU ; 8-byte Folded Reload
	scratch_store_b64 off, v[2:3], off offset:944 ; 8-byte Folded Spill
	s_wait_loadcnt 0x0
	v_fma_f64 v[2:3], v[182:183], v[0:1], v[98:99]
	v_fma_f64 v[68:69], v[22:23], v[0:1], v[68:69]
	;; [unrolled: 1-line block ×5, first 2 shown]
	v_dual_mov_b32 v99, v21 :: v_dual_mov_b32 v98, v20
	v_dual_mov_b32 v97, v19 :: v_dual_mov_b32 v96, v18
	scratch_store_b64 off, v[2:3], off offset:1152 ; 8-byte Folded Spill
	v_fma_f64 v[2:3], v[122:123], v[0:1], v[100:101]
	scratch_store_b64 off, v[2:3], off offset:1040 ; 8-byte Folded Spill
	v_fma_f64 v[2:3], v[124:125], v[0:1], v[102:103]
	scratch_store_b64 off, v[2:3], off offset:984 ; 8-byte Folded Spill
	v_fma_f64 v[2:3], v[18:19], v[0:1], v[104:105]
	scratch_load_b64 v[0:1], off, off offset:1128 th:TH_LOAD_LU ; 8-byte Folded Reload
	scratch_store_b64 off, v[2:3], off offset:960 ; 8-byte Folded Spill
	s_wait_loadcnt 0x0
	v_fma_f64 v[2:3], v[182:183], v[0:1], v[88:89]
	v_fma_f64 v[56:57], v[22:23], v[0:1], v[54:55]
	;; [unrolled: 1-line block ×4, first 2 shown]
	scratch_store_b64 off, v[2:3], off offset:1136 ; 8-byte Folded Spill
	v_fma_f64 v[2:3], v[122:123], v[0:1], v[106:107]
	scratch_store_b64 off, v[2:3], off offset:1120 ; 8-byte Folded Spill
	v_fma_f64 v[2:3], v[124:125], v[0:1], v[108:109]
	;; [unrolled: 2-line block ×3, first 2 shown]
	v_fma_f64 v[0:1], v[20:21], v[0:1], v[50:51]
	s_clause 0x1
	scratch_store_b64 off, v[2:3], off offset:992
	scratch_store_b64 off, v[0:1], off offset:952
	scratch_load_b64 v[0:1], off, off offset:1104 th:TH_LOAD_LU ; 8-byte Folded Reload
	s_wait_loadcnt 0x0
	v_fma_f64 v[2:3], v[124:125], v[0:1], v[26:27]
	scratch_load_b64 v[26:27], off, off offset:1088 th:TH_LOAD_LU ; 8-byte Folded Reload
	v_fma_f64 v[80:81], v[180:181], v[0:1], v[114:115]
	v_fma_f64 v[52:53], v[22:23], v[0:1], v[30:31]
	;; [unrolled: 1-line block ×5, first 2 shown]
	scratch_store_b64 off, v[2:3], off offset:1072 ; 8-byte Folded Spill
	v_fma_f64 v[2:3], v[18:19], v[0:1], v[28:29]
	v_fma_f64 v[0:1], v[20:21], v[0:1], v[40:41]
	s_clause 0x1
	scratch_store_b64 off, v[2:3], off offset:1024
	scratch_store_b64 off, v[0:1], off offset:976
	v_dual_mov_b32 v0, v22 :: v_dual_mov_b32 v1, v23
	v_dual_mov_b32 v2, v24 :: v_dual_mov_b32 v3, v25
	s_wait_loadcnt 0x0
	v_fma_f64 v[114:115], v[18:19], v[26:27], v[86:87]
	scratch_load_b64 v[18:19], off, off offset:888 th:TH_LOAD_LU ; 8-byte Folded Reload
	v_fma_f64 v[16:17], v[22:23], v[26:27], v[16:17]
	v_fma_f64 v[50:51], v[24:25], v[26:27], v[60:61]
	;; [unrolled: 1-line block ×7, first 2 shown]
	scratch_load_b64 v[20:21], off, off offset:832 th:TH_LOAD_LU ; 8-byte Folded Reload
	scratch_store_b64 off, v[22:23], off offset:1008 ; 8-byte Folded Spill
	s_wait_loadcnt 0x1
	v_fma_f64 v[58:59], v[150:151], v[18:19], 0
	v_fma_f64 v[60:61], v[152:153], v[18:19], 0
	;; [unrolled: 1-line block ×8, first 2 shown]
	scratch_load_b64 v[18:19], off, off offset:880 th:TH_LOAD_LU ; 8-byte Folded Reload
	s_wait_loadcnt 0x0
	v_fma_f64 v[58:59], v[154:155], v[18:19], v[58:59]
	v_fma_f64 v[60:61], v[156:157], v[18:19], v[60:61]
	;; [unrolled: 1-line block ×8, first 2 shown]
	scratch_load_b64 v[18:19], off, off offset:872 th:TH_LOAD_LU ; 8-byte Folded Reload
	s_wait_loadcnt 0x0
	v_fma_f64 v[40:41], v[150:151], v[18:19], 0
	v_fma_f64 v[84:85], v[152:153], v[18:19], 0
	;; [unrolled: 1-line block ×8, first 2 shown]
	s_clause 0x1
	scratch_load_b64 v[22:23], off, off offset:864 th:TH_LOAD_LU
	scratch_load_b128 v[42:45], off, off offset:48
	v_fma_f64 v[40:41], v[154:155], v[20:21], v[40:41]
	v_fma_f64 v[84:85], v[156:157], v[20:21], v[84:85]
	;; [unrolled: 1-line block ×8, first 2 shown]
	s_wait_loadcnt 0x1
	v_fma_f64 v[26:27], v[14:15], v[22:23], v[30:31]
	s_wait_loadcnt 0x0
	v_fma_f64 v[20:21], v[42:43], v[22:23], v[58:59]
	v_fma_f64 v[58:59], v[44:45], v[22:23], v[60:61]
	;; [unrolled: 1-line block ×7, first 2 shown]
	scratch_load_b64 v[22:23], off, off offset:840 th:TH_LOAD_LU ; 8-byte Folded Reload
	s_wait_loadcnt 0x0
	v_fma_f64 v[30:31], v[42:43], v[22:23], v[40:41]
	v_fma_f64 v[40:41], v[44:45], v[22:23], v[84:85]
	;; [unrolled: 1-line block ×8, first 2 shown]
	s_clause 0x4
	scratch_load_b128 v[12:15], off, off offset:288
	scratch_load_b64 v[8:9], off, off offset:856 th:TH_LOAD_LU
	scratch_load_b128 v[42:45], off, off offset:304
	scratch_load_b128 v[36:39], off, off offset:96
	;; [unrolled: 1-line block ×3, first 2 shown]
	s_wait_loadcnt 0x2
	v_fma_f64 v[20:21], v[42:43], v[8:9], v[20:21]
	v_fma_f64 v[22:23], v[44:45], v[8:9], v[58:59]
	s_wait_loadcnt 0x1
	v_fma_f64 v[58:59], v[36:37], v[8:9], v[60:61]
	v_fma_f64 v[60:61], v[38:39], v[8:9], v[62:63]
	;; [unrolled: 1-line block ×4, first 2 shown]
	s_wait_loadcnt 0x0
	v_fma_f64 v[72:73], v[32:33], v[8:9], v[76:77]
	v_fma_f64 v[26:27], v[34:35], v[8:9], v[26:27]
	scratch_load_b64 v[8:9], off, off offset:848 th:TH_LOAD_LU ; 8-byte Folded Reload
	s_wait_loadcnt 0x0
	v_fma_f64 v[28:29], v[42:43], v[8:9], v[30:31]
	v_fma_f64 v[30:31], v[44:45], v[8:9], v[40:41]
	;; [unrolled: 1-line block ×8, first 2 shown]
	s_clause 0x2
	scratch_load_b64 v[8:9], off, off offset:528 th:TH_LOAD_LU
	scratch_load_b128 v[32:35], off, off offset:320
	scratch_load_b128 v[42:45], off, off offset:648
	s_wait_loadcnt 0x2
	v_fma_f64 v[20:21], v[184:185], v[8:9], v[20:21]
	v_fma_f64 v[22:23], v[186:187], v[8:9], v[22:23]
	;; [unrolled: 1-line block ×4, first 2 shown]
	s_wait_loadcnt 0x0
	v_fma_f64 v[60:61], v[42:43], v[8:9], v[62:63]
	v_fma_f64 v[62:63], v[44:45], v[8:9], v[70:71]
	;; [unrolled: 1-line block ×4, first 2 shown]
	scratch_load_b64 v[8:9], off, off offset:496 th:TH_LOAD_LU ; 8-byte Folded Reload
	s_wait_loadcnt 0x0
	v_fma_f64 v[28:29], v[184:185], v[8:9], v[28:29]
	v_fma_f64 v[30:31], v[186:187], v[8:9], v[30:31]
	;; [unrolled: 1-line block ×8, first 2 shown]
	scratch_load_b64 v[8:9], off, off offset:792 th:TH_LOAD_LU ; 8-byte Folded Reload
	v_dual_mov_b32 v184, v188 :: v_dual_mov_b32 v185, v189
	v_dual_mov_b32 v186, v190 :: v_dual_mov_b32 v187, v191
	s_wait_loadcnt 0x0
	v_fma_f64 v[20:21], v[170:171], v[8:9], v[20:21]
	v_fma_f64 v[22:23], v[172:173], v[8:9], v[22:23]
	v_fma_f64 v[24:25], v[188:189], v[8:9], v[24:25]
	v_fma_f64 v[32:33], v[190:191], v[8:9], v[58:59]
	v_fma_f64 v[58:59], v[4:5], v[8:9], v[60:61]
	v_fma_f64 v[60:61], v[6:7], v[8:9], v[62:63]
	v_fma_f64 v[62:63], v[130:131], v[8:9], v[70:71]
	v_fma_f64 v[26:27], v[132:133], v[8:9], v[26:27]
	scratch_load_b64 v[8:9], off, off offset:512 th:TH_LOAD_LU ; 8-byte Folded Reload
	s_wait_loadcnt 0x0
	v_fma_f64 v[38:39], v[190:191], v[8:9], v[40:41]
	v_fma_f64 v[40:41], v[4:5], v[8:9], v[72:73]
	scratch_load_b64 v[4:5], off, off offset:744 th:TH_LOAD_LU ; 8-byte Folded Reload
	v_fma_f64 v[28:29], v[170:171], v[8:9], v[28:29]
	v_fma_f64 v[30:31], v[172:173], v[8:9], v[30:31]
	;; [unrolled: 1-line block ×6, first 2 shown]
	s_wait_loadcnt 0x0
	v_fma_f64 v[20:21], v[118:119], v[4:5], v[20:21]
	v_fma_f64 v[22:23], v[120:121], v[4:5], v[22:23]
	v_fma_f64 v[24:25], v[174:175], v[4:5], v[24:25]
	v_fma_f64 v[32:33], v[176:177], v[4:5], v[32:33]
	v_fma_f64 v[34:35], v[166:167], v[4:5], v[58:59]
	v_fma_f64 v[58:59], v[168:169], v[4:5], v[60:61]
	v_fma_f64 v[60:61], v[126:127], v[4:5], v[62:63]
	v_fma_f64 v[26:27], v[128:129], v[4:5], v[26:27]
	scratch_load_b64 v[4:5], off, off offset:176 th:TH_LOAD_LU ; 8-byte Folded Reload
	s_wait_loadcnt 0x0
	v_fma_f64 v[28:29], v[118:119], v[4:5], v[28:29]
	v_fma_f64 v[30:31], v[120:121], v[4:5], v[30:31]
	v_fma_f64 v[36:37], v[174:175], v[4:5], v[36:37]
	v_fma_f64 v[38:39], v[176:177], v[4:5], v[38:39]
	v_fma_f64 v[40:41], v[166:167], v[4:5], v[40:41]
	v_fma_f64 v[46:47], v[168:169], v[4:5], v[70:71]
	v_fma_f64 v[62:63], v[126:127], v[4:5], v[72:73]
	v_fma_f64 v[18:19], v[128:129], v[4:5], v[18:19]
	scratch_load_b64 v[4:5], off, off offset:760 th:TH_LOAD_LU ; 8-byte Folded Reload
	;; [unrolled: 10-line block ×3, first 2 shown]
	s_wait_loadcnt 0x0
	v_fma_f64 v[28:29], v[0:1], v[4:5], v[28:29]
	v_fma_f64 v[34:35], v[180:181], v[4:5], v[36:37]
	;; [unrolled: 1-line block ×3, first 2 shown]
	s_clause 0x1
	scratch_load_b128 v[36:39], off, off offset:1768
	scratch_load_b64 v[0:1], off, off offset:936 th:TH_LOAD_LU
	v_fma_f64 v[102:103], v[96:97], v[4:5], v[62:63]
	v_fma_f64 v[116:117], v[124:125], v[4:5], v[46:47]
	;; [unrolled: 1-line block ×5, first 2 shown]
	s_wait_loadcnt 0x1
	v_add_f64_e32 v[94:95], v[38:39], v[112:113]
	s_wait_loadcnt 0x0
	v_add_f64_e32 v[92:93], v[36:37], v[0:1]
	scratch_load_b128 v[36:39], off, off offset:1752 ; 16-byte Folded Reload
	s_wait_loadcnt 0x0
	v_add_f64_e32 v[76:77], v[36:37], v[68:69]
	v_add_f64_e32 v[78:79], v[38:39], v[56:57]
	scratch_load_b128 v[36:39], off, off offset:1736 ; 16-byte Folded Reload
	s_wait_loadcnt 0x0
	v_add_f64_e32 v[60:61], v[36:37], v[52:53]
	;; [unrolled: 4-line block ×3, first 2 shown]
	v_add_f64_e32 v[46:47], v[38:39], v[28:29]
	s_clause 0x2
	scratch_load_b128 v[36:39], off, off offset:1832
	scratch_load_b64 v[0:1], off, off offset:928 th:TH_LOAD_LU
	scratch_load_b128 v[4:7], off, off offset:1784
	s_wait_loadcnt 0x1
	v_add_f64_e32 v[88:89], v[36:37], v[0:1]
	scratch_load_b64 v[0:1], off, off offset:1160 th:TH_LOAD_LU ; 8-byte Folded Reload
	s_wait_loadcnt 0x0
	v_add_f64_e32 v[90:91], v[38:39], v[0:1]
	scratch_load_b128 v[36:39], off, off offset:1816 ; 16-byte Folded Reload
	s_wait_loadcnt 0x0
	v_add_f64_e32 v[72:73], v[36:37], v[74:75]
	v_add_f64_e32 v[74:75], v[38:39], v[66:67]
	scratch_load_b128 v[36:39], off, off offset:1800 ; 16-byte Folded Reload
	s_wait_loadcnt 0x0
	v_add_f64_e32 v[56:57], v[36:37], v[54:55]
	v_add_f64_e32 v[58:59], v[38:39], v[50:51]
	;; [unrolled: 1-line block ×4, first 2 shown]
	s_clause 0x1
	scratch_load_b128 v[4:7], off, off offset:1896
	scratch_load_b64 v[0:1], off, off offset:920 th:TH_LOAD_LU
	s_wait_loadcnt 0x0
	v_add_f64_e32 v[84:85], v[4:5], v[0:1]
	scratch_load_b64 v[0:1], off, off offset:1144 th:TH_LOAD_LU ; 8-byte Folded Reload
	s_wait_loadcnt 0x0
	v_add_f64_e32 v[86:87], v[6:7], v[0:1]
	scratch_load_b128 v[4:7], off, off offset:1880 ; 16-byte Folded Reload
	s_wait_loadcnt 0x0
	v_add_f64_e32 v[68:69], v[4:5], v[178:179]
	v_add_f64_e32 v[70:71], v[6:7], v[82:83]
	scratch_load_b128 v[4:7], off, off offset:1864 ; 16-byte Folded Reload
	s_wait_loadcnt 0x0
	v_add_f64_e32 v[52:53], v[4:5], v[80:81]
	;; [unrolled: 4-line block ×3, first 2 shown]
	v_add_f64_e32 v[42:43], v[6:7], v[34:35]
	s_clause 0x1
	scratch_load_b128 v[4:7], off, off offset:1960
	scratch_load_b64 v[0:1], off, off offset:912 th:TH_LOAD_LU
	s_wait_loadcnt 0x0
	v_add_f64_e32 v[80:81], v[4:5], v[0:1]
	scratch_load_b64 v[0:1], off, off offset:1056 th:TH_LOAD_LU ; 8-byte Folded Reload
	s_wait_loadcnt 0x0
	v_add_f64_e32 v[82:83], v[6:7], v[0:1]
	s_clause 0x1
	scratch_load_b128 v[4:7], off, off offset:1944
	scratch_load_b64 v[0:1], off, off offset:1152 th:TH_LOAD_LU
	s_wait_loadcnt 0x0
	v_add_f64_e32 v[64:65], v[4:5], v[0:1]
	scratch_load_b64 v[0:1], off, off offset:1136 th:TH_LOAD_LU ; 8-byte Folded Reload
	s_wait_loadcnt 0x0
	v_add_f64_e32 v[66:67], v[6:7], v[0:1]
	scratch_load_b128 v[4:7], off, off offset:1928 ; 16-byte Folded Reload
	s_wait_loadcnt 0x0
	v_add_f64_e32 v[48:49], v[4:5], v[104:105]
	v_add_f64_e32 v[50:51], v[6:7], v[110:111]
	scratch_load_b128 v[4:7], off, off offset:1912 ; 16-byte Folded Reload
	s_wait_loadcnt 0x0
	v_add_f64_e32 v[32:33], v[4:5], v[32:33]
	v_add_f64_e32 v[34:35], v[6:7], v[148:149]
	s_clause 0x1
	scratch_load_b128 v[4:7], off, off offset:2024
	scratch_load_b64 v[0:1], off, off offset:904 th:TH_LOAD_LU
	s_wait_loadcnt 0x0
	v_add_f64_e32 v[4:5], v[4:5], v[0:1]
	scratch_load_b64 v[0:1], off, off offset:1000 th:TH_LOAD_LU ; 8-byte Folded Reload
	s_wait_loadcnt 0x0
	v_add_f64_e32 v[6:7], v[6:7], v[0:1]
	scratch_store_b128 off, v[4:7], off offset:528 ; 16-byte Folded Spill
	s_clause 0x1
	scratch_load_b128 v[4:7], off, off offset:2008
	scratch_load_b64 v[0:1], off, off offset:1040 th:TH_LOAD_LU
	s_wait_loadcnt 0x0
	v_add_f64_e32 v[4:5], v[4:5], v[0:1]
	scratch_load_b64 v[0:1], off, off offset:1120 th:TH_LOAD_LU ; 8-byte Folded Reload
	s_wait_loadcnt 0x0
	v_add_f64_e32 v[6:7], v[6:7], v[0:1]
	scratch_store_b128 off, v[4:7], off offset:496 ; 16-byte Folded Spill
	scratch_load_b128 v[4:7], off, off offset:1992 ; 16-byte Folded Reload
	s_wait_loadcnt 0x0
	v_add_f64_e32 v[172:173], v[4:5], v[108:109]
	v_add_f64_e32 v[174:175], v[6:7], v[100:101]
	scratch_load_b128 v[4:7], off, off offset:1976 ; 16-byte Folded Reload
	s_wait_loadcnt 0x0
	v_add_f64_e32 v[166:167], v[4:5], v[132:133]
	v_add_f64_e32 v[168:169], v[6:7], v[150:151]
	s_clause 0x1
	scratch_load_b128 v[4:7], off, off offset:2088
	scratch_load_b64 v[0:1], off, off offset:896 th:TH_LOAD_LU
	s_wait_loadcnt 0x0
	v_add_f64_e32 v[4:5], v[4:5], v[0:1]
	scratch_load_b64 v[0:1], off, off offset:968 th:TH_LOAD_LU ; 8-byte Folded Reload
	s_wait_loadcnt 0x0
	v_add_f64_e32 v[6:7], v[6:7], v[0:1]
	scratch_store_b128 off, v[4:7], off offset:512 ; 16-byte Folded Spill
	s_clause 0x1
	scratch_load_b128 v[4:7], off, off offset:2072
	scratch_load_b64 v[0:1], off, off offset:984 th:TH_LOAD_LU
	s_wait_loadcnt 0x0
	v_add_f64_e32 v[180:181], v[4:5], v[0:1]
	scratch_load_b64 v[0:1], off, off offset:1016 th:TH_LOAD_LU ; 8-byte Folded Reload
	s_wait_loadcnt 0x0
	v_add_f64_e32 v[182:183], v[6:7], v[0:1]
	s_clause 0x1
	scratch_load_b128 v[4:7], off, off offset:2056
	scratch_load_b64 v[0:1], off, off offset:1072 th:TH_LOAD_LU
	s_wait_loadcnt 0x1
	v_add_f64_e32 v[178:179], v[6:7], v[106:107]
	s_wait_loadcnt 0x0
	v_add_f64_e32 v[176:177], v[4:5], v[0:1]
	scratch_load_b128 v[4:7], off, off offset:2040 ; 16-byte Folded Reload
	s_wait_loadcnt 0x0
	v_add_f64_e32 v[108:109], v[4:5], v[146:147]
	v_add_f64_e32 v[110:111], v[6:7], v[116:117]
	s_clause 0x1
	scratch_load_b128 v[4:7], off, off offset:2152
	scratch_load_b64 v[0:1], off, off offset:776 th:TH_LOAD_LU
	s_wait_loadcnt 0x0
	v_add_f64_e32 v[130:131], v[4:5], v[0:1]
	scratch_load_b64 v[0:1], off, off offset:944 th:TH_LOAD_LU ; 8-byte Folded Reload
	s_wait_loadcnt 0x0
	v_add_f64_e32 v[132:133], v[6:7], v[0:1]
	s_clause 0x1
	scratch_load_b128 v[4:7], off, off offset:2136
	scratch_load_b64 v[0:1], off, off offset:960 th:TH_LOAD_LU
	s_wait_loadcnt 0x0
	v_add_f64_e32 v[134:135], v[4:5], v[0:1]
	scratch_load_b64 v[0:1], off, off offset:992 th:TH_LOAD_LU ; 8-byte Folded Reload
	s_wait_loadcnt 0x0
	v_add_f64_e32 v[136:137], v[6:7], v[0:1]
	s_clause 0x1
	scratch_load_b128 v[4:7], off, off offset:2120
	scratch_load_b64 v[0:1], off, off offset:1024 th:TH_LOAD_LU
	s_wait_loadcnt 0x1
	v_add_f64_e32 v[106:107], v[6:7], v[114:115]
	s_wait_loadcnt 0x0
	v_add_f64_e32 v[104:105], v[4:5], v[0:1]
	scratch_load_b128 v[4:7], off, off offset:2104 ; 16-byte Folded Reload
	s_wait_loadcnt 0x0
	v_add_f64_e32 v[4:5], v[4:5], v[152:153]
	v_add_f64_e32 v[6:7], v[6:7], v[102:103]
	scratch_store_b128 off, v[4:7], off offset:368 ; 16-byte Folded Spill
	s_clause 0x1
	scratch_load_b128 v[4:7], off, off offset:2216
	scratch_load_b64 v[0:1], off, off offset:616 th:TH_LOAD_LU
	s_wait_loadcnt 0x1
	v_add_f64_e32 v[140:141], v[6:7], v[158:159]
	s_wait_loadcnt 0x0
	v_add_f64_e32 v[138:139], v[4:5], v[0:1]
	s_clause 0x1
	scratch_load_b128 v[4:7], off, off offset:2200
	scratch_load_b64 v[0:1], off, off offset:952 th:TH_LOAD_LU
	s_wait_loadcnt 0x1
	v_add_f64_e32 v[112:113], v[4:5], v[164:165]
	s_wait_loadcnt 0x0
	v_add_f64_e32 v[114:115], v[6:7], v[0:1]
	s_clause 0x2
	scratch_load_b128 v[4:7], off, off offset:2184
	scratch_load_b64 v[0:1], off, off offset:976 th:TH_LOAD_LU
	scratch_load_b64 v[2:3], off, off offset:1008 th:TH_LOAD_LU
	s_wait_loadcnt 0x1
	v_add_f64_e32 v[0:1], v[4:5], v[0:1]
	s_wait_loadcnt 0x0
	v_add_f64_e32 v[2:3], v[6:7], v[2:3]
	scratch_store_b128 off, v[0:3], off offset:176 ; 16-byte Folded Spill
	scratch_load_b128 v[0:3], off, off offset:2168 ; 16-byte Folded Reload
	s_wait_loadcnt 0x0
	v_add_f64_e32 v[0:1], v[0:1], v[26:27]
	v_add_f64_e32 v[2:3], v[2:3], v[18:19]
	scratch_store_b128 off, v[0:3], off offset:616 ; 16-byte Folded Spill
	s_clause 0x1
	scratch_load_b64 v[116:117], off, off offset:544
	scratch_load_b64 v[0:1], off, off offset:824 th:TH_LOAD_LU
	s_wait_loadcnt 0x0
	global_store_b64 v[116:117], v[0:1], off
	s_clause 0x4
	scratch_load_b128 v[150:153], off, off offset:192
	scratch_load_b128 v[154:157], off, off offset:208
	;; [unrolled: 1-line block ×4, first 2 shown]
	scratch_load_b64 v[170:171], off, off offset:808
	s_branch .LBB0_39
.LBB0_47:                               ;   in Loop: Header=BB0_40 Depth=1
	s_clause 0x1
	scratch_load_b128 v[4:7], off, off offset:272
	scratch_load_b128 v[0:3], off, off offset:400
	s_branch .LBB0_42
.LBB0_48:
	s_nop 0
	s_sendmsg sendmsg(MSG_DEALLOC_VGPRS)
	s_endpgm
	.section	.rodata,"a",@progbits
	.p2align	6, 0x0
	.amdhsa_kernel _Z6kalmanILi8EEvPKdiS1_S1_S1_S1_S1_bS1_iPdS2_S2_iiS2_bS2_
		.amdhsa_group_segment_fixed_size 0
		.amdhsa_private_segment_fixed_size 2260
		.amdhsa_kernarg_size 392
		.amdhsa_user_sgpr_count 2
		.amdhsa_user_sgpr_dispatch_ptr 0
		.amdhsa_user_sgpr_queue_ptr 0
		.amdhsa_user_sgpr_kernarg_segment_ptr 1
		.amdhsa_user_sgpr_dispatch_id 0
		.amdhsa_user_sgpr_private_segment_size 0
		.amdhsa_wavefront_size32 1
		.amdhsa_uses_dynamic_stack 0
		.amdhsa_enable_private_segment 1
		.amdhsa_system_sgpr_workgroup_id_x 1
		.amdhsa_system_sgpr_workgroup_id_y 0
		.amdhsa_system_sgpr_workgroup_id_z 0
		.amdhsa_system_sgpr_workgroup_info 0
		.amdhsa_system_vgpr_workitem_id 0
		.amdhsa_next_free_vgpr 192
		.amdhsa_next_free_sgpr 32
		.amdhsa_reserve_vcc 1
		.amdhsa_float_round_mode_32 0
		.amdhsa_float_round_mode_16_64 0
		.amdhsa_float_denorm_mode_32 3
		.amdhsa_float_denorm_mode_16_64 3
		.amdhsa_fp16_overflow 0
		.amdhsa_workgroup_processor_mode 1
		.amdhsa_memory_ordered 1
		.amdhsa_forward_progress 1
		.amdhsa_inst_pref_size 255
		.amdhsa_round_robin_scheduling 0
		.amdhsa_exception_fp_ieee_invalid_op 0
		.amdhsa_exception_fp_denorm_src 0
		.amdhsa_exception_fp_ieee_div_zero 0
		.amdhsa_exception_fp_ieee_overflow 0
		.amdhsa_exception_fp_ieee_underflow 0
		.amdhsa_exception_fp_ieee_inexact 0
		.amdhsa_exception_int_div_zero 0
	.end_amdhsa_kernel
	.section	.text._Z6kalmanILi8EEvPKdiS1_S1_S1_S1_S1_bS1_iPdS2_S2_iiS2_bS2_,"axG",@progbits,_Z6kalmanILi8EEvPKdiS1_S1_S1_S1_S1_bS1_iPdS2_S2_iiS2_bS2_,comdat
.Lfunc_end0:
	.size	_Z6kalmanILi8EEvPKdiS1_S1_S1_S1_S1_bS1_iPdS2_S2_iiS2_bS2_, .Lfunc_end0-_Z6kalmanILi8EEvPKdiS1_S1_S1_S1_S1_bS1_iPdS2_S2_iiS2_bS2_
                                        ; -- End function
	.set _Z6kalmanILi8EEvPKdiS1_S1_S1_S1_S1_bS1_iPdS2_S2_iiS2_bS2_.num_vgpr, 192
	.set _Z6kalmanILi8EEvPKdiS1_S1_S1_S1_S1_bS1_iPdS2_S2_iiS2_bS2_.num_agpr, 0
	.set _Z6kalmanILi8EEvPKdiS1_S1_S1_S1_S1_bS1_iPdS2_S2_iiS2_bS2_.numbered_sgpr, 32
	.set _Z6kalmanILi8EEvPKdiS1_S1_S1_S1_S1_bS1_iPdS2_S2_iiS2_bS2_.num_named_barrier, 0
	.set _Z6kalmanILi8EEvPKdiS1_S1_S1_S1_S1_bS1_iPdS2_S2_iiS2_bS2_.private_seg_size, 2260
	.set _Z6kalmanILi8EEvPKdiS1_S1_S1_S1_S1_bS1_iPdS2_S2_iiS2_bS2_.uses_vcc, 1
	.set _Z6kalmanILi8EEvPKdiS1_S1_S1_S1_S1_bS1_iPdS2_S2_iiS2_bS2_.uses_flat_scratch, 1
	.set _Z6kalmanILi8EEvPKdiS1_S1_S1_S1_S1_bS1_iPdS2_S2_iiS2_bS2_.has_dyn_sized_stack, 0
	.set _Z6kalmanILi8EEvPKdiS1_S1_S1_S1_S1_bS1_iPdS2_S2_iiS2_bS2_.has_recursion, 0
	.set _Z6kalmanILi8EEvPKdiS1_S1_S1_S1_S1_bS1_iPdS2_S2_iiS2_bS2_.has_indirect_call, 0
	.section	.AMDGPU.csdata,"",@progbits
; Kernel info:
; codeLenInByte = 42996
; TotalNumSgprs: 34
; NumVgprs: 192
; ScratchSize: 2260
; MemoryBound: 0
; FloatMode: 240
; IeeeMode: 1
; LDSByteSize: 0 bytes/workgroup (compile time only)
; SGPRBlocks: 0
; VGPRBlocks: 23
; NumSGPRsForWavesPerEU: 34
; NumVGPRsForWavesPerEU: 192
; Occupancy: 8
; WaveLimiterHint : 0
; COMPUTE_PGM_RSRC2:SCRATCH_EN: 1
; COMPUTE_PGM_RSRC2:USER_SGPR: 2
; COMPUTE_PGM_RSRC2:TRAP_HANDLER: 0
; COMPUTE_PGM_RSRC2:TGID_X_EN: 1
; COMPUTE_PGM_RSRC2:TGID_Y_EN: 0
; COMPUTE_PGM_RSRC2:TGID_Z_EN: 0
; COMPUTE_PGM_RSRC2:TIDIG_COMP_CNT: 0
	.section	.AMDGPU.gpr_maximums,"",@progbits
	.set amdgpu.max_num_vgpr, 0
	.set amdgpu.max_num_agpr, 0
	.set amdgpu.max_num_sgpr, 0
	.section	.AMDGPU.csdata,"",@progbits
	.type	__hip_cuid_bee4245c9c62ec16,@object ; @__hip_cuid_bee4245c9c62ec16
	.section	.bss,"aw",@nobits
	.globl	__hip_cuid_bee4245c9c62ec16
__hip_cuid_bee4245c9c62ec16:
	.byte	0                               ; 0x0
	.size	__hip_cuid_bee4245c9c62ec16, 1

	.ident	"AMD clang version 22.0.0git (https://github.com/RadeonOpenCompute/llvm-project roc-7.2.4 26084 f58b06dce1f9c15707c5f808fd002e18c2accf7e)"
	.section	".note.GNU-stack","",@progbits
	.addrsig
	.addrsig_sym __hip_cuid_bee4245c9c62ec16
	.amdgpu_metadata
---
amdhsa.kernels:
  - .args:
      - .actual_access:  read_only
        .address_space:  global
        .offset:         0
        .size:           8
        .value_kind:     global_buffer
      - .offset:         8
        .size:           4
        .value_kind:     by_value
      - .actual_access:  read_only
        .address_space:  global
        .offset:         16
        .size:           8
        .value_kind:     global_buffer
      - .actual_access:  read_only
        .address_space:  global
        .offset:         24
        .size:           8
        .value_kind:     global_buffer
      - .actual_access:  read_only
        .address_space:  global
        .offset:         32
        .size:           8
        .value_kind:     global_buffer
      - .actual_access:  read_only
        .address_space:  global
        .offset:         40
        .size:           8
        .value_kind:     global_buffer
      - .actual_access:  read_only
        .address_space:  global
        .offset:         48
        .size:           8
        .value_kind:     global_buffer
      - .offset:         56
        .size:           1
        .value_kind:     by_value
      - .actual_access:  read_only
        .address_space:  global
        .offset:         64
        .size:           8
        .value_kind:     global_buffer
      - .offset:         72
        .size:           4
        .value_kind:     by_value
      - .actual_access:  write_only
        .address_space:  global
        .offset:         80
        .size:           8
        .value_kind:     global_buffer
      - .actual_access:  write_only
        .address_space:  global
        .offset:         88
        .size:           8
        .value_kind:     global_buffer
      - .actual_access:  write_only
        .address_space:  global
        .offset:         96
        .size:           8
        .value_kind:     global_buffer
      - .offset:         104
        .size:           4
        .value_kind:     by_value
      - .offset:         108
        .size:           4
        .value_kind:     by_value
      - .actual_access:  write_only
        .address_space:  global
        .offset:         112
        .size:           8
        .value_kind:     global_buffer
      - .offset:         120
        .size:           1
        .value_kind:     by_value
      - .address_space:  global
        .offset:         128
        .size:           8
        .value_kind:     global_buffer
      - .offset:         136
        .size:           4
        .value_kind:     hidden_block_count_x
      - .offset:         140
        .size:           4
        .value_kind:     hidden_block_count_y
      - .offset:         144
        .size:           4
        .value_kind:     hidden_block_count_z
      - .offset:         148
        .size:           2
        .value_kind:     hidden_group_size_x
      - .offset:         150
        .size:           2
        .value_kind:     hidden_group_size_y
      - .offset:         152
        .size:           2
        .value_kind:     hidden_group_size_z
      - .offset:         154
        .size:           2
        .value_kind:     hidden_remainder_x
      - .offset:         156
        .size:           2
        .value_kind:     hidden_remainder_y
      - .offset:         158
        .size:           2
        .value_kind:     hidden_remainder_z
      - .offset:         176
        .size:           8
        .value_kind:     hidden_global_offset_x
      - .offset:         184
        .size:           8
        .value_kind:     hidden_global_offset_y
      - .offset:         192
        .size:           8
        .value_kind:     hidden_global_offset_z
      - .offset:         200
        .size:           2
        .value_kind:     hidden_grid_dims
    .group_segment_fixed_size: 0
    .kernarg_segment_align: 8
    .kernarg_segment_size: 392
    .language:       OpenCL C
    .language_version:
      - 2
      - 0
    .max_flat_workgroup_size: 1024
    .name:           _Z6kalmanILi8EEvPKdiS1_S1_S1_S1_S1_bS1_iPdS2_S2_iiS2_bS2_
    .private_segment_fixed_size: 2260
    .sgpr_count:     34
    .sgpr_spill_count: 0
    .symbol:         _Z6kalmanILi8EEvPKdiS1_S1_S1_S1_S1_bS1_iPdS2_S2_iiS2_bS2_.kd
    .uniform_work_group_size: 1
    .uses_dynamic_stack: false
    .vgpr_count:     192
    .vgpr_spill_count: 1042
    .wavefront_size: 32
    .workgroup_processor_mode: 1
amdhsa.target:   amdgcn-amd-amdhsa--gfx1201
amdhsa.version:
  - 1
  - 2
...

	.end_amdgpu_metadata
